;; amdgpu-corpus repo=ROCm/rocFFT kind=compiled arch=gfx950 opt=O3
	.text
	.amdgcn_target "amdgcn-amd-amdhsa--gfx950"
	.amdhsa_code_object_version 6
	.protected	bluestein_single_back_len1001_dim1_sp_op_CI_CI ; -- Begin function bluestein_single_back_len1001_dim1_sp_op_CI_CI
	.globl	bluestein_single_back_len1001_dim1_sp_op_CI_CI
	.p2align	8
	.type	bluestein_single_back_len1001_dim1_sp_op_CI_CI,@function
bluestein_single_back_len1001_dim1_sp_op_CI_CI: ; @bluestein_single_back_len1001_dim1_sp_op_CI_CI
; %bb.0:
	s_load_dwordx4 s[4:7], s[0:1], 0x28
	v_mul_u32_u24_e32 v1, 0x2d1, v0
	v_lshrrev_b32_e32 v1, 16, v1
	v_lshl_add_u32 v246, s2, 1, v1
	v_mov_b32_e32 v247, 0
	s_waitcnt lgkmcnt(0)
	v_cmp_gt_u64_e32 vcc, s[4:5], v[246:247]
	s_and_saveexec_b64 s[2:3], vcc
	s_cbranch_execz .LBB0_25
; %bb.1:
	s_load_dwordx2 s[12:13], s[0:1], 0x0
	s_load_dwordx2 s[14:15], s[0:1], 0x38
	v_mul_lo_u16_e32 v2, 0x5b, v1
	v_sub_u16_e32 v244, v0, v2
	v_and_b32_e32 v0, 1, v1
	v_mov_b32_e32 v1, 0x3e9
	v_cmp_eq_u32_e32 vcc, 1, v0
	s_movk_i32 s2, 0x4d
	v_cmp_gt_u16_e64 s[4:5], s2, v244
	v_cndmask_b32_e32 v186, 0, v1, vcc
	v_lshlrev_b32_e32 v250, 3, v244
	v_lshlrev_b32_e32 v82, 3, v186
	s_and_saveexec_b64 s[2:3], s[4:5]
	s_cbranch_execz .LBB0_3
; %bb.2:
	s_load_dwordx2 s[8:9], s[0:1], 0x18
	v_mov_b32_e32 v0, s6
	v_mov_b32_e32 v1, s7
	;; [unrolled: 1-line block ×4, first 2 shown]
	s_waitcnt lgkmcnt(0)
	s_load_dwordx4 s[8:11], s[8:9], 0x0
	s_waitcnt lgkmcnt(0)
	v_mad_u64_u32 v[2:3], s[6:7], s10, v246, 0
	v_mad_u64_u32 v[4:5], s[6:7], s8, v244, 0
	v_mov_b32_e32 v6, v3
	v_mov_b32_e32 v8, v5
	v_mad_u64_u32 v[6:7], s[6:7], s11, v246, v[6:7]
	v_mov_b32_e32 v3, v6
	v_mad_u64_u32 v[6:7], s[6:7], s9, v244, v[8:9]
	v_mov_b32_e32 v5, v6
	v_lshl_add_u64 v[0:1], v[2:3], 3, v[0:1]
	v_lshl_add_u64 v[0:1], v[4:5], 3, v[0:1]
	global_load_dwordx2 v[2:3], v[0:1], off
	v_mad_u64_u32 v[0:1], s[6:7], s8, v52, v[0:1]
	s_mulk_i32 s9, 0x268
	v_add_u32_e32 v1, s9, v1
	v_mad_u64_u32 v[10:11], s[6:7], s8, v52, v[0:1]
	v_add_u32_e32 v11, s9, v11
	v_mad_u64_u32 v[14:15], s[6:7], s8, v52, v[10:11]
	v_add_u32_e32 v15, s9, v15
	v_mad_u64_u32 v[16:17], s[6:7], s8, v52, v[14:15]
	v_add_u32_e32 v17, s9, v17
	global_load_dwordx2 v[6:7], v250, s[12:13]
	global_load_dwordx2 v[8:9], v250, s[12:13] offset:616
	global_load_dwordx2 v[12:13], v250, s[12:13] offset:1232
	v_lshl_add_u64 v[4:5], s[12:13], 0, v[250:251]
	global_load_dwordx2 v[0:1], v[0:1], off
	s_nop 0
	global_load_dwordx2 v[18:19], v[10:11], off
	global_load_dwordx2 v[20:21], v[14:15], off
	;; [unrolled: 1-line block ×3, first 2 shown]
	v_mad_u64_u32 v[10:11], s[6:7], s8, v52, v[16:17]
	v_add_u32_e32 v11, s9, v11
	global_load_dwordx2 v[14:15], v250, s[12:13] offset:1848
	global_load_dwordx2 v[16:17], v[10:11], off
	global_load_dwordx2 v[24:25], v250, s[12:13] offset:2464
	global_load_dwordx2 v[26:27], v250, s[12:13] offset:3080
	v_mad_u64_u32 v[10:11], s[6:7], s8, v52, v[10:11]
	v_add_u32_e32 v11, s9, v11
	global_load_dwordx2 v[28:29], v[10:11], off
	global_load_dwordx2 v[30:31], v250, s[12:13] offset:3696
	v_mad_u64_u32 v[10:11], s[6:7], s8, v52, v[10:11]
	v_add_u32_e32 v11, s9, v11
	s_movk_i32 s6, 0x1000
	global_load_dwordx2 v[32:33], v[10:11], off
	v_add_co_u32_e32 v4, vcc, s6, v4
	v_mad_u64_u32 v[10:11], s[6:7], s8, v52, v[10:11]
	s_nop 0
	v_addc_co_u32_e32 v5, vcc, 0, v5, vcc
	v_add_u32_e32 v11, s9, v11
	global_load_dwordx2 v[34:35], v[4:5], off offset:216
	global_load_dwordx2 v[36:37], v[10:11], off
	global_load_dwordx2 v[38:39], v[4:5], off offset:832
	v_mad_u64_u32 v[10:11], s[6:7], s8, v52, v[10:11]
	v_add_u32_e32 v11, s9, v11
	global_load_dwordx2 v[40:41], v[10:11], off
	global_load_dwordx2 v[42:43], v[4:5], off offset:1448
	v_mad_u64_u32 v[10:11], s[6:7], s8, v52, v[10:11]
	v_add_u32_e32 v11, s9, v11
	global_load_dwordx2 v[44:45], v[10:11], off
	global_load_dwordx2 v[46:47], v[4:5], off offset:2064
	v_mad_u64_u32 v[10:11], s[6:7], s8, v52, v[10:11]
	v_add_u32_e32 v11, s9, v11
	global_load_dwordx2 v[48:49], v[10:11], off
	global_load_dwordx2 v[50:51], v[4:5], off offset:2680
	v_mad_u64_u32 v[10:11], s[6:7], s8, v52, v[10:11]
	v_add_u32_e32 v11, s9, v11
	global_load_dwordx2 v[52:53], v[4:5], off offset:3296
	global_load_dwordx2 v[54:55], v[10:11], off
	v_lshl_add_u32 v10, v244, 3, v82
	v_add_u32_e32 v11, v82, v250
	s_waitcnt vmcnt(24)
	v_mul_f32_e32 v5, v2, v7
	v_mul_f32_e32 v4, v3, v7
	v_fma_f32 v5, v3, v6, -v5
	v_fmac_f32_e32 v4, v2, v6
	s_waitcnt vmcnt(21)
	v_mul_f32_e32 v2, v1, v9
	v_mul_f32_e32 v3, v0, v9
	v_fmac_f32_e32 v2, v0, v8
	v_fma_f32 v3, v1, v8, -v3
	s_waitcnt vmcnt(20)
	v_mul_f32_e32 v0, v19, v13
	v_mul_f32_e32 v1, v18, v13
	v_fmac_f32_e32 v0, v18, v12
	v_fma_f32 v1, v19, v12, -v1
	ds_write_b64 v10, v[4:5]
	ds_write2_b64 v11, v[2:3], v[0:1] offset0:77 offset1:154
	s_waitcnt vmcnt(17)
	v_mul_f32_e32 v0, v21, v15
	v_mul_f32_e32 v1, v20, v15
	s_waitcnt vmcnt(15)
	v_mul_f32_e32 v2, v23, v25
	v_mul_f32_e32 v3, v22, v25
	v_fmac_f32_e32 v0, v20, v14
	v_fma_f32 v1, v21, v14, -v1
	v_fmac_f32_e32 v2, v22, v24
	v_fma_f32 v3, v23, v24, -v3
	v_add_u32_e32 v4, 0x400, v11
	ds_write2_b64 v4, v[0:1], v[2:3] offset0:103 offset1:180
	s_waitcnt vmcnt(14)
	v_mul_f32_e32 v0, v17, v27
	v_mul_f32_e32 v1, v16, v27
	s_waitcnt vmcnt(12)
	v_mul_f32_e32 v2, v29, v31
	v_mul_f32_e32 v3, v28, v31
	v_fmac_f32_e32 v0, v16, v26
	v_fma_f32 v1, v17, v26, -v1
	v_fmac_f32_e32 v2, v28, v30
	v_fma_f32 v3, v29, v30, -v3
	v_add_u32_e32 v4, 0x800, v11
	ds_write2_b64 v4, v[0:1], v[2:3] offset0:129 offset1:206
	s_waitcnt vmcnt(10)
	v_mul_f32_e32 v0, v33, v35
	v_mul_f32_e32 v1, v32, v35
	s_waitcnt vmcnt(8)
	v_mul_f32_e32 v2, v37, v39
	v_mul_f32_e32 v3, v36, v39
	v_fmac_f32_e32 v0, v32, v34
	v_fma_f32 v1, v33, v34, -v1
	v_fmac_f32_e32 v2, v36, v38
	v_fma_f32 v3, v37, v38, -v3
	v_add_u32_e32 v4, 0x1000, v11
	ds_write2_b64 v4, v[0:1], v[2:3] offset0:27 offset1:104
	s_waitcnt vmcnt(6)
	v_mul_f32_e32 v0, v41, v43
	v_mul_f32_e32 v1, v40, v43
	s_waitcnt vmcnt(4)
	v_mul_f32_e32 v2, v45, v47
	v_mul_f32_e32 v3, v44, v47
	v_fmac_f32_e32 v0, v40, v42
	v_fma_f32 v1, v41, v42, -v1
	v_fmac_f32_e32 v2, v44, v46
	v_fma_f32 v3, v45, v46, -v3
	v_add_u32_e32 v4, 0x1400, v11
	ds_write2_b64 v4, v[0:1], v[2:3] offset0:53 offset1:130
	s_waitcnt vmcnt(2)
	v_mul_f32_e32 v0, v49, v51
	v_mul_f32_e32 v1, v48, v51
	s_waitcnt vmcnt(0)
	v_mul_f32_e32 v2, v55, v53
	v_mul_f32_e32 v3, v54, v53
	v_fmac_f32_e32 v0, v48, v50
	v_fma_f32 v1, v49, v50, -v1
	v_fmac_f32_e32 v2, v54, v52
	v_fma_f32 v3, v55, v52, -v3
	v_add_u32_e32 v4, 0x1800, v11
	ds_write2_b64 v4, v[0:1], v[2:3] offset0:79 offset1:156
.LBB0_3:
	s_or_b64 exec, exec, s[2:3]
	v_mov_b64_e32 v[0:1], 0
	s_waitcnt lgkmcnt(0)
	s_barrier
	s_waitcnt lgkmcnt(0)
                                        ; implicit-def: $vgpr6
                                        ; implicit-def: $vgpr12
                                        ; implicit-def: $vgpr10
                                        ; implicit-def: $vgpr16
                                        ; implicit-def: $vgpr22
                                        ; implicit-def: $vgpr28
	s_and_saveexec_b64 s[2:3], s[4:5]
	s_cbranch_execz .LBB0_5
; %bb.4:
	v_lshl_add_u32 v24, v186, 3, v250
	v_add_u32_e32 v4, 0x800, v24
	ds_read2_b64 v[8:11], v4 offset0:52 offset1:129
	v_add_u32_e32 v4, 0xc00, v24
	v_add_u32_e32 v12, 0x1000, v24
	;; [unrolled: 1-line block ×3, first 2 shown]
	ds_read2_b64 v[0:3], v24 offset1:77
	ds_read2_b64 v[4:7], v4 offset0:78 offset1:155
	ds_read2_b64 v[12:15], v12 offset0:104 offset1:181
	;; [unrolled: 1-line block ×4, first 2 shown]
	ds_read_b64 v[28:29], v24 offset:7392
.LBB0_5:
	s_or_b64 exec, exec, s[2:3]
	s_waitcnt lgkmcnt(0)
	v_pk_add_f32 v[106:107], v[2:3], v[28:29] neg_lo:[0,1] neg_hi:[0,1]
	s_mov_b32 s10, 0xbf6f5d39
	v_pk_add_f32 v[92:93], v[28:29], v[2:3]
	v_pk_add_f32 v[122:123], v[20:21], v[18:19] neg_lo:[0,1] neg_hi:[0,1]
	s_mov_b32 s6, 0xbeb58ec6
	v_pk_mul_f32 v[26:27], v[106:107], s[10:11] op_sel_hi:[1,0]
	s_mov_b32 s34, 0x3f29c268
	v_pk_add_f32 v[112:113], v[18:19], v[20:21]
	s_mov_b32 s8, 0xbf3f9e67
	v_pk_fma_f32 v[30:31], v[92:93], s[6:7], v[26:27] op_sel:[0,0,1] op_sel_hi:[1,0,0]
	v_pk_fma_f32 v[32:33], v[92:93], s[6:7], v[26:27] op_sel:[0,0,1] op_sel_hi:[1,0,0] neg_lo:[0,0,1] neg_hi:[0,0,1]
	v_pk_mul_f32 v[36:37], v[122:123], s[34:35] op_sel_hi:[1,0]
	s_mov_b32 s18, 0x3eedf032
	v_pk_add_f32 v[46:47], v[22:23], v[16:17] neg_lo:[0,1] neg_hi:[0,1]
	v_mov_b32_e32 v26, v30
	v_mov_b32_e32 v27, v33
	v_pk_fma_f32 v[34:35], v[112:113], s[8:9], v[36:37] op_sel:[0,0,1] op_sel_hi:[1,0,0]
	v_pk_fma_f32 v[36:37], v[112:113], s[8:9], v[36:37] op_sel:[0,0,1] op_sel_hi:[1,0,0] neg_lo:[0,0,1] neg_hi:[0,0,1]
	s_mov_b32 s16, 0x3f62ad3f
	v_pk_add_f32 v[44:45], v[16:17], v[22:23]
	v_pk_add_f32 v[26:27], v[26:27], v[0:1]
	v_mov_b32_e32 v38, v34
	v_mov_b32_e32 v39, v37
	v_pk_mul_f32 v[40:41], v[46:47], s[18:19] op_sel_hi:[1,0]
	v_pk_add_f32 v[26:27], v[38:39], v[26:27]
	v_pk_fma_f32 v[38:39], v[44:45], s[16:17], v[40:41] op_sel:[0,0,1] op_sel_hi:[1,0,0]
	v_pk_fma_f32 v[48:49], v[44:45], s[16:17], v[40:41] op_sel:[0,0,1] op_sel_hi:[1,0,0] neg_lo:[0,0,1] neg_hi:[0,0,1]
	v_pk_add_f32 v[42:43], v[8:9], v[14:15] neg_lo:[0,1] neg_hi:[0,1]
	s_mov_b32 s24, 0xbf7e222b
	v_mov_b32_e32 v40, v38
	v_mov_b32_e32 v41, v49
	v_pk_add_f32 v[24:25], v[14:15], v[8:9]
	s_mov_b32 s2, 0x3df6dbef
	v_pk_add_f32 v[26:27], v[40:41], v[26:27]
	v_pk_mul_f32 v[40:41], v[42:43], s[24:25] op_sel_hi:[1,0]
	s_mov_b32 s26, 0xbeedf032
	v_pk_fma_f32 v[50:51], v[24:25], s[2:3], v[40:41] op_sel:[0,0,1] op_sel_hi:[1,0,0]
	v_pk_fma_f32 v[52:53], v[24:25], s[2:3], v[40:41] op_sel:[0,0,1] op_sel_hi:[1,0,0] neg_lo:[0,0,1] neg_hi:[0,0,1]
	v_mov_b32_e32 v40, v50
	v_mov_b32_e32 v41, v53
	v_pk_add_f32 v[26:27], v[40:41], v[26:27]
	s_mov_b32 s22, 0xbf52af12
	v_pk_mul_f32 v[40:41], v[106:107], s[26:27] op_sel_hi:[1,0]
	s_mov_b32 s20, 0x3f116cb1
	v_pk_fma_f32 v[54:55], v[92:93], s[16:17], v[40:41] op_sel:[0,0,1] op_sel_hi:[1,0,0]
	v_pk_fma_f32 v[56:57], v[92:93], s[16:17], v[40:41] op_sel:[0,0,1] op_sel_hi:[1,0,0] neg_lo:[0,0,1] neg_hi:[0,0,1]
	v_pk_mul_f32 v[60:61], v[122:123], s[22:23] op_sel_hi:[1,0]
	v_mov_b32_e32 v40, v54
	v_mov_b32_e32 v41, v57
	v_pk_fma_f32 v[58:59], v[112:113], s[20:21], v[60:61] op_sel:[0,0,1] op_sel_hi:[1,0,0]
	v_pk_fma_f32 v[60:61], v[112:113], s[20:21], v[60:61] op_sel:[0,0,1] op_sel_hi:[1,0,0] neg_lo:[0,0,1] neg_hi:[0,0,1]
	v_mov_b32_e32 v62, v58
	v_mov_b32_e32 v63, v61
	v_pk_add_f32 v[40:41], v[40:41], v[0:1]
	v_pk_mul_f32 v[64:65], v[46:47], s[24:25] op_sel_hi:[1,0]
	v_pk_add_f32 v[40:41], v[62:63], v[40:41]
	v_pk_fma_f32 v[62:63], v[44:45], s[2:3], v[64:65] op_sel:[0,0,1] op_sel_hi:[1,0,0]
	v_pk_fma_f32 v[64:65], v[44:45], s[2:3], v[64:65] op_sel:[0,0,1] op_sel_hi:[1,0,0] neg_lo:[0,0,1] neg_hi:[0,0,1]
	v_mov_b32_e32 v66, v62
	v_mov_b32_e32 v67, v65
	v_pk_add_f32 v[40:41], v[66:67], v[40:41]
	v_pk_mul_f32 v[66:67], v[42:43], s[10:11] op_sel_hi:[1,0]
	s_mov_b32 s26, 0xbf29c268
	v_pk_fma_f32 v[70:71], v[24:25], s[6:7], v[66:67] op_sel:[0,0,1] op_sel_hi:[1,0,0]
	v_pk_fma_f32 v[72:73], v[24:25], s[6:7], v[66:67] op_sel:[0,0,1] op_sel_hi:[1,0,0] neg_lo:[0,0,1] neg_hi:[0,0,1]
	v_mov_b32_e32 v66, v70
	v_mov_b32_e32 v67, v73
	v_pk_add_f32 v[136:137], v[10:11], v[12:13] neg_lo:[0,1] neg_hi:[0,1]
	v_pk_add_f32 v[40:41], v[66:67], v[40:41]
	v_pk_add_f32 v[138:139], v[12:13], v[10:11]
	v_pk_mul_f32 v[66:67], v[136:137], s[26:27] op_sel_hi:[1,0]
	v_pk_mul_f32 v[76:77], v[122:123], s[10:11] op_sel_hi:[1,0]
	v_pk_fma_f32 v[78:79], v[138:139], s[8:9], v[66:67] op_sel:[0,0,1] op_sel_hi:[1,0,0]
	v_pk_fma_f32 v[84:85], v[138:139], s[8:9], v[66:67] op_sel:[0,0,1] op_sel_hi:[1,0,0] neg_lo:[0,0,1] neg_hi:[0,0,1]
	v_mov_b32_e32 v66, v78
	v_mov_b32_e32 v67, v85
	v_pk_add_f32 v[188:189], v[66:67], v[40:41]
	v_pk_mul_f32 v[40:41], v[106:107], s[22:23] op_sel_hi:[1,0]
	v_pk_fma_f32 v[74:75], v[112:113], s[6:7], v[76:77] op_sel:[0,0,1] op_sel_hi:[1,0,0]
	v_pk_fma_f32 v[66:67], v[92:93], s[20:21], v[40:41] op_sel:[0,0,1] op_sel_hi:[1,0,0]
	v_pk_fma_f32 v[68:69], v[92:93], s[20:21], v[40:41] op_sel:[0,0,1] op_sel_hi:[1,0,0] neg_lo:[0,0,1] neg_hi:[0,0,1]
	v_mov_b32_e32 v40, v66
	v_mov_b32_e32 v41, v69
	v_pk_fma_f32 v[76:77], v[112:113], s[6:7], v[76:77] op_sel:[0,0,1] op_sel_hi:[1,0,0] neg_lo:[0,0,1] neg_hi:[0,0,1]
	v_mov_b32_e32 v86, v74
	v_mov_b32_e32 v87, v77
	v_pk_add_f32 v[40:41], v[40:41], v[0:1]
	s_mov_b32 s30, 0xbe750f2a
	v_pk_add_f32 v[40:41], v[86:87], v[40:41]
	s_mov_b32 s28, 0xbf788fa5
	v_pk_mul_f32 v[86:87], v[46:47], s[30:31] op_sel_hi:[1,0]
	s_mov_b32 s36, 0x3e750f2a
	v_pk_fma_f32 v[98:99], v[44:45], s[28:29], v[86:87] op_sel:[0,0,1] op_sel_hi:[1,0,0]
	v_pk_fma_f32 v[100:101], v[44:45], s[28:29], v[86:87] op_sel:[0,0,1] op_sel_hi:[1,0,0] neg_lo:[0,0,1] neg_hi:[0,0,1]
	v_mov_b32_e32 v86, v98
	v_mov_b32_e32 v87, v101
	v_pk_add_f32 v[40:41], v[86:87], v[40:41]
	v_pk_mul_f32 v[86:87], v[42:43], s[34:35] op_sel_hi:[1,0]
	s_mov_b32 s34, 0x3f7e222b
	v_pk_fma_f32 v[102:103], v[24:25], s[8:9], v[86:87] op_sel:[0,0,1] op_sel_hi:[1,0,0]
	v_pk_fma_f32 v[104:105], v[24:25], s[8:9], v[86:87] op_sel:[0,0,1] op_sel_hi:[1,0,0] neg_lo:[0,0,1] neg_hi:[0,0,1]
	v_mov_b32_e32 v86, v102
	v_mov_b32_e32 v87, v105
	v_pk_add_f32 v[40:41], v[86:87], v[40:41]
	v_pk_mul_f32 v[86:87], v[136:137], s[34:35] op_sel_hi:[1,0]
	v_pk_mul_f32 v[88:89], v[136:137], s[36:37] op_sel_hi:[1,0]
	v_pk_fma_f32 v[108:109], v[138:139], s[2:3], v[86:87] op_sel:[0,0,1] op_sel_hi:[1,0,0]
	v_pk_fma_f32 v[110:111], v[138:139], s[2:3], v[86:87] op_sel:[0,0,1] op_sel_hi:[1,0,0] neg_lo:[0,0,1] neg_hi:[0,0,1]
	v_mov_b32_e32 v86, v108
	v_mov_b32_e32 v87, v111
	v_pk_add_f32 v[40:41], v[86:87], v[40:41]
	v_pk_fma_f32 v[86:87], v[138:139], s[28:29], v[88:89] op_sel:[0,0,1] op_sel_hi:[1,0,0]
	v_pk_fma_f32 v[88:89], v[138:139], s[28:29], v[88:89] op_sel:[0,0,1] op_sel_hi:[1,0,0] neg_lo:[0,0,1] neg_hi:[0,0,1]
	v_mov_b32_e32 v90, v86
	v_mov_b32_e32 v91, v89
	v_pk_add_f32 v[140:141], v[4:5], v[6:7] neg_lo:[0,1] neg_hi:[0,1]
	v_pk_add_f32 v[90:91], v[90:91], v[26:27]
	v_pk_add_f32 v[142:143], v[6:7], v[4:5]
	v_pk_mul_f32 v[26:27], v[140:141], s[18:19] op_sel_hi:[1,0]
	s_mov_b32 s38, 0x3f52af12
	v_pk_fma_f32 v[114:115], v[142:143], s[16:17], v[26:27] op_sel:[0,0,1] op_sel_hi:[1,0,0]
	v_pk_fma_f32 v[116:117], v[142:143], s[16:17], v[26:27] op_sel:[0,0,1] op_sel_hi:[1,0,0] neg_lo:[0,0,1] neg_hi:[0,0,1]
	v_mov_b32_e32 v26, v114
	v_mov_b32_e32 v27, v117
	v_pk_add_f32 v[26:27], v[26:27], v[40:41]
	v_pk_mul_f32 v[40:41], v[140:141], s[38:39] op_sel_hi:[1,0]
	v_pk_mul_f32 v[118:119], v[106:107], s[24:25] op_sel_hi:[1,0]
	v_pk_fma_f32 v[94:95], v[142:143], s[20:21], v[40:41] op_sel:[0,0,1] op_sel_hi:[1,0,0]
	v_pk_fma_f32 v[96:97], v[142:143], s[20:21], v[40:41] op_sel:[0,0,1] op_sel_hi:[1,0,0] neg_lo:[0,0,1] neg_hi:[0,0,1]
	v_mov_b32_e32 v40, v94
	v_mov_b32_e32 v41, v97
	v_pk_add_f32 v[40:41], v[40:41], v[90:91]
	v_pk_mul_f32 v[90:91], v[106:107], s[30:31] op_sel_hi:[1,0]
	v_pk_mul_f32 v[106:107], v[106:107], s[26:27] op_sel_hi:[1,0]
	v_pk_fma_f32 v[154:155], v[92:93], s[28:29], v[90:91] op_sel:[0,0,1] op_sel_hi:[1,0,0]
	v_pk_fma_f32 v[90:91], v[92:93], s[28:29], v[90:91] op_sel:[0,0,1] op_sel_hi:[1,0,0] neg_lo:[0,0,1] neg_hi:[0,0,1]
	v_pk_fma_f32 v[144:145], v[92:93], s[2:3], v[118:119] op_sel:[0,0,1] op_sel_hi:[1,0,0]
	v_pk_fma_f32 v[118:119], v[92:93], s[2:3], v[118:119] op_sel:[0,0,1] op_sel_hi:[1,0,0] neg_lo:[0,0,1] neg_hi:[0,0,1]
	v_pk_fma_f32 v[156:157], v[92:93], s[8:9], v[106:107] op_sel:[0,0,1] op_sel_hi:[1,0,0]
	v_pk_fma_f32 v[106:107], v[92:93], s[8:9], v[106:107] op_sel:[0,0,1] op_sel_hi:[1,0,0] neg_lo:[0,0,1] neg_hi:[0,0,1]
	v_pk_mul_f32 v[92:93], v[122:123], s[18:19] op_sel_hi:[1,0]
	v_pk_mul_f32 v[120:121], v[122:123], s[30:31] op_sel_hi:[1,0]
	;; [unrolled: 1-line block ×5, first 2 shown]
	v_pk_fma_f32 v[158:159], v[112:113], s[16:17], v[92:93] op_sel:[0,0,1] op_sel_hi:[1,0,0]
	v_pk_fma_f32 v[92:93], v[112:113], s[16:17], v[92:93] op_sel:[0,0,1] op_sel_hi:[1,0,0] neg_lo:[0,0,1] neg_hi:[0,0,1]
	v_pk_fma_f32 v[148:149], v[112:113], s[28:29], v[120:121] op_sel:[0,0,1] op_sel_hi:[1,0,0]
	v_pk_fma_f32 v[120:121], v[112:113], s[28:29], v[120:121] op_sel:[0,0,1] op_sel_hi:[1,0,0] neg_lo:[0,0,1] neg_hi:[0,0,1]
	;; [unrolled: 2-line block ×3, first 2 shown]
	v_mov_b32_e32 v122, v151
	v_mov_b32_e32 v123, v162
	v_pk_mul_f32 v[166:167], v[42:43], s[18:19] op_sel_hi:[1,0]
	v_pk_mul_f32 v[124:125], v[136:137], s[18:19] op_sel_hi:[1,0]
	s_mov_b32 s19, s36
	v_pk_fma_f32 v[126:127], v[42:43], s[18:19], v[122:123] neg_lo:[1,0,0] neg_hi:[1,0,0]
	v_pk_fma_f32 v[122:123], v[42:43], s[18:19], v[122:123]
	v_mov_b32_e32 v128, v160
	v_mov_b32_e32 v127, v123
	;; [unrolled: 1-line block ×4, first 2 shown]
	v_pk_add_f32 v[122:123], v[122:123], v[0:1]
	v_mov_b32_e32 v129, v121
	s_mov_b32 s18, 0x3f6f5d39
	v_pk_add_f32 v[122:123], v[128:129], v[122:123]
	v_pk_mul_f32 v[128:129], v[46:47], s[18:19] op_sel_hi:[1,0]
	v_pk_mul_f32 v[130:131], v[46:47], s[22:23] op_sel_hi:[1,0]
	v_pk_fma_f32 v[134:135], v[44:45], s[6:7], v[128:129] op_sel:[0,0,1] op_sel_hi:[1,0,0] neg_lo:[0,0,1] neg_hi:[0,0,1]
	v_pk_fma_f32 v[170:171], v[44:45], s[20:21], v[130:131] op_sel:[0,0,1] op_sel_hi:[1,0,0]
	v_mov_b32_e32 v133, v135
	v_mov_b32_e32 v132, v170
	v_pk_add_f32 v[122:123], v[132:133], v[122:123]
	v_pk_fma_f32 v[168:169], v[138:139], s[16:17], v[124:125] op_sel:[0,0,1] op_sel_hi:[1,0,0]
	v_pk_add_f32 v[146:147], v[126:127], v[122:123] op_sel:[0,1] op_sel_hi:[1,0]
	v_pk_fma_f32 v[122:123], v[138:139], s[16:17], v[124:125] op_sel:[0,0,1] op_sel_hi:[1,0,0] neg_lo:[0,0,1] neg_hi:[0,0,1]
	s_mov_b32 s17, s28
	v_pk_mul_f32 v[174:175], v[42:43], s[36:37] op_sel_hi:[1,0]
	v_pk_fma_f32 v[124:125], v[24:25], s[16:17], v[166:167] op_sel:[0,0,1] op_sel_hi:[1,1,0]
	v_pk_fma_f32 v[126:127], v[24:25], s[16:17], v[174:175] op_sel:[0,0,1] op_sel_hi:[1,1,0] neg_lo:[0,0,1] neg_hi:[0,0,1]
	v_mov_b32_e32 v132, v148
	v_mov_b32_e32 v125, v127
	;; [unrolled: 1-line block ×4, first 2 shown]
	v_pk_add_f32 v[126:127], v[126:127], v[0:1]
	v_mov_b32_e32 v133, v113
	v_pk_add_f32 v[132:133], v[132:133], v[126:127]
	v_pk_fma_f32 v[172:173], v[44:45], s[6:7], v[128:129] op_sel:[0,0,1] op_sel_hi:[1,0,0]
	v_pk_fma_f32 v[126:127], v[44:45], s[20:21], v[130:131] op_sel:[0,0,1] op_sel_hi:[1,0,0] neg_lo:[0,0,1] neg_hi:[0,0,1]
	v_mov_b32_e32 v128, v172
	v_mov_b32_e32 v129, v127
	v_pk_add_f32 v[128:129], v[128:129], v[132:133]
	v_pk_mul_f32 v[46:47], v[46:47], s[26:27] op_sel_hi:[1,0]
	v_pk_add_f32 v[164:165], v[124:125], v[128:129]
	v_mov_b32_e32 v124, v154
	v_mov_b32_e32 v125, v91
	v_pk_add_f32 v[124:125], v[124:125], v[0:1]
	v_mov_b32_e32 v128, v158
	v_mov_b32_e32 v129, v93
	v_pk_add_f32 v[130:131], v[128:129], v[124:125]
	v_pk_fma_f32 v[124:125], v[44:45], s[8:9], v[46:47] op_sel:[0,0,1] op_sel_hi:[1,0,0] neg_lo:[0,0,1] neg_hi:[0,0,1]
	v_pk_fma_f32 v[128:129], v[44:45], s[8:9], v[46:47] op_sel:[0,0,1] op_sel_hi:[1,0,0]
	v_mov_b32_e32 v45, v125
	v_mov_b32_e32 v44, v128
	v_pk_mul_f32 v[42:43], v[42:43], s[38:39] op_sel_hi:[1,0]
	v_pk_add_f32 v[44:45], v[44:45], v[130:131]
	v_pk_fma_f32 v[130:131], v[24:25], s[20:21], v[42:43] op_sel:[0,0,1] op_sel_hi:[1,0,0] neg_lo:[0,0,1] neg_hi:[0,0,1]
	v_pk_fma_f32 v[132:133], v[24:25], s[20:21], v[42:43] op_sel:[0,0,1] op_sel_hi:[1,0,0]
	v_pk_mul_f32 v[42:43], v[136:137], s[22:23] op_sel_hi:[1,0]
	v_mov_b32_e32 v24, v132
	v_mov_b32_e32 v25, v131
	v_pk_fma_f32 v[152:153], v[138:139], s[20:21], v[42:43] op_sel:[0,0,1] op_sel_hi:[1,0,0] neg_lo:[0,0,1] neg_hi:[0,0,1]
	v_pk_add_f32 v[24:25], v[24:25], v[44:45]
	v_mov_b32_e32 v44, v153
	v_mov_b32_e32 v45, v168
	v_pk_fma_f32 v[180:181], v[138:139], s[20:21], v[42:43] op_sel:[0,0,1] op_sel_hi:[1,0,0]
	v_pk_mul_f32 v[46:47], v[136:137], s[10:11] op_sel_hi:[1,0]
	v_pk_add_f32 v[44:45], v[44:45], v[146:147]
	v_mov_b32_e32 v42, v180
	v_mov_b32_e32 v43, v123
	v_pk_fma_f32 v[136:137], v[138:139], s[6:7], v[46:47] op_sel:[0,0,1] op_sel_hi:[1,0,0] neg_lo:[0,0,1] neg_hi:[0,0,1]
	v_pk_fma_f32 v[138:139], v[138:139], s[6:7], v[46:47] op_sel:[0,0,1] op_sel_hi:[1,0,0]
	v_pk_mul_f32 v[146:147], v[140:141], s[26:27] op_sel_hi:[1,0]
	v_pk_mul_f32 v[176:177], v[140:141], s[10:11] op_sel_hi:[1,0]
	v_pk_add_f32 v[42:43], v[42:43], v[164:165]
	v_mov_b32_e32 v46, v138
	v_mov_b32_e32 v47, v137
	v_pk_fma_f32 v[164:165], v[142:143], s[8:9], v[146:147] op_sel:[0,0,1] op_sel_hi:[1,0,0] neg_lo:[0,0,1] neg_hi:[0,0,1]
	v_pk_fma_f32 v[184:185], v[142:143], s[6:7], v[176:177] op_sel:[0,0,1] op_sel_hi:[1,0,0]
	v_pk_add_f32 v[24:25], v[46:47], v[24:25]
	v_mov_b32_e32 v46, v165
	v_mov_b32_e32 v47, v184
	v_pk_fma_f32 v[182:183], v[142:143], s[8:9], v[146:147] op_sel:[0,0,1] op_sel_hi:[1,0,0]
	v_pk_fma_f32 v[146:147], v[142:143], s[6:7], v[176:177] op_sel:[0,0,1] op_sel_hi:[1,0,0] neg_lo:[0,0,1] neg_hi:[0,0,1]
	v_pk_add_f32 v[46:47], v[46:47], v[44:45]
	v_mov_b32_e32 v44, v182
	v_mov_b32_e32 v45, v147
	v_pk_add_f32 v[44:45], v[44:45], v[42:43]
	v_pk_mul_f32 v[42:43], v[140:141], s[30:31] op_sel_hi:[1,0]
	v_mul_lo_u16_e32 v255, 13, v244
	v_pk_fma_f32 v[176:177], v[142:143], s[28:29], v[42:43] op_sel:[0,0,1] op_sel_hi:[1,0,0]
	v_pk_fma_f32 v[178:179], v[142:143], s[28:29], v[42:43] op_sel:[0,0,1] op_sel_hi:[1,0,0] neg_lo:[0,0,1] neg_hi:[0,0,1]
	v_pk_mul_f32 v[42:43], v[140:141], s[34:35] op_sel_hi:[1,0]
	s_nop 0
	v_pk_fma_f32 v[140:141], v[142:143], s[2:3], v[42:43] op_sel:[0,0,1] op_sel_hi:[1,0,0] neg_lo:[0,0,1] neg_hi:[0,0,1]
	v_pk_fma_f32 v[142:143], v[142:143], s[2:3], v[42:43] op_sel:[0,0,1] op_sel_hi:[1,0,0]
	v_mov_b32_e32 v43, v141
	v_mov_b32_e32 v42, v142
	v_pk_add_f32 v[42:43], v[42:43], v[24:25]
	v_mov_b32_e32 v24, v176
	v_mov_b32_e32 v25, v179
	v_pk_add_f32 v[24:25], v[24:25], v[188:189]
	s_barrier
	s_and_saveexec_b64 s[2:3], s[4:5]
	s_cbranch_execz .LBB0_7
; %bb.6:
	v_pk_add_f32 v[2:3], v[2:3], v[0:1]
	v_mov_b32_e32 v57, v55
	v_pk_add_f32 v[2:3], v[20:21], v[2:3]
	v_mov_b32_e32 v61, v59
	;; [unrolled: 2-line block ×5, first 2 shown]
	v_pk_add_f32 v[2:3], v[4:5], v[2:3]
	v_pk_add_f32 v[4:5], v[56:57], v[0:1]
	;; [unrolled: 1-line block ×11, first 2 shown]
	v_mov_b32_e32 v179, v177
	v_mov_b32_e32 v119, v145
	v_add_lshl_u32 v30, v186, v255, 3
	v_pk_add_f32 v[2:3], v[28:29], v[2:3]
	v_pk_add_f32 v[4:5], v[178:179], v[4:5]
	v_mov_b32_e32 v69, v67
	v_mov_b32_e32 v188, v167
	;; [unrolled: 1-line block ×4, first 2 shown]
	ds_write2_b64 v30, v[2:3], v[4:5] offset1:1
	v_pk_add_f32 v[2:3], v[68:69], v[0:1]
	v_mov_b32_e32 v77, v75
	v_pk_add_f32 v[4:5], v[118:119], v[0:1]
	v_mov_b32_e32 v135, v173
	v_pk_add_f32 v[144:145], v[150:151], v[188:189] neg_lo:[0,1] neg_hi:[0,1]
	v_pk_add_f32 v[148:149], v[150:151], v[188:189]
	v_pk_add_f32 v[2:3], v[76:77], v[2:3]
	v_mov_b32_e32 v101, v99
	v_pk_add_f32 v[4:5], v[120:121], v[4:5]
	v_mov_b32_e32 v145, v149
	;; [unrolled: 2-line block ×8, first 2 shown]
	v_mov_b32_e32 v107, v157
	v_pk_add_f32 v[2:3], v[116:117], v[2:3]
	v_pk_add_f32 v[4:5], v[164:165], v[4:5]
	v_mov_b32_e32 v33, v31
	v_mov_b32_e32 v93, v159
	ds_write2_b64 v30, v[2:3], v[4:5] offset0:2 offset1:3
	v_pk_add_f32 v[2:3], v[32:33], v[0:1]
	v_pk_add_f32 v[4:5], v[106:107], v[0:1]
	;; [unrolled: 1-line block ×3, first 2 shown]
	v_mov_b32_e32 v125, v129
	v_pk_add_f32 v[0:1], v[92:93], v[0:1]
	v_mov_b32_e32 v166, v175
	v_mov_b32_e32 v167, v174
	;; [unrolled: 1-line block ×4, first 2 shown]
	v_pk_add_f32 v[0:1], v[124:125], v[0:1]
	v_mov_b32_e32 v131, v133
	v_mov_b32_e32 v127, v171
	v_pk_add_f32 v[154:155], v[162:163], v[166:167] neg_lo:[0,1] neg_hi:[0,1]
	v_pk_add_f32 v[156:157], v[162:163], v[166:167]
	v_pk_add_f32 v[2:3], v[36:37], v[2:3]
	v_mov_b32_e32 v49, v39
	v_pk_add_f32 v[4:5], v[112:113], v[4:5]
	v_pk_add_f32 v[0:1], v[130:131], v[0:1]
	v_mov_b32_e32 v137, v139
	v_mov_b32_e32 v155, v157
	v_pk_add_f32 v[2:3], v[48:49], v[2:3]
	v_mov_b32_e32 v53, v51
	v_pk_add_f32 v[4:5], v[126:127], v[4:5]
	v_pk_add_f32 v[0:1], v[136:137], v[0:1]
	v_mov_b32_e32 v141, v143
	v_mov_b32_e32 v123, v169
	v_pk_add_f32 v[2:3], v[52:53], v[2:3]
	v_mov_b32_e32 v89, v87
	v_pk_add_f32 v[4:5], v[154:155], v[4:5]
	v_pk_add_f32 v[0:1], v[140:141], v[0:1]
	v_mov_b32_e32 v147, v185
	v_pk_add_f32 v[2:3], v[88:89], v[2:3]
	v_mov_b32_e32 v97, v95
	v_pk_add_f32 v[4:5], v[122:123], v[4:5]
	ds_write2_b64 v30, v[0:1], v[42:43] offset0:6 offset1:7
	v_mov_b32_e32 v0, v47
	v_mov_b32_e32 v1, v45
	v_pk_add_f32 v[2:3], v[96:97], v[2:3]
	v_pk_add_f32 v[4:5], v[146:147], v[4:5]
	ds_write2_b64 v30, v[0:1], v[40:41] offset0:8 offset1:9
	v_mov_b32_e32 v0, v44
	v_mov_b32_e32 v1, v46
	ds_write2_b64 v30, v[2:3], v[4:5] offset0:4 offset1:5
	ds_write2_b64 v30, v[0:1], v[26:27] offset0:10 offset1:11
	ds_write_b64 v30, v[24:25] offset:96
.LBB0_7:
	s_or_b64 exec, exec, s[2:3]
	v_add_lshl_u32 v245, v186, v244, 3
	v_add_u32_e32 v0, 0x800, v245
	s_load_dwordx2 s[8:9], s[0:1], 0x20
	s_load_dwordx2 s[6:7], s[0:1], 0x8
	s_waitcnt lgkmcnt(0)
	s_barrier
	ds_read2_b64 v[32:35], v0 offset0:30 offset1:173
	v_add_u32_e32 v0, 0x1000, v245
	ds_read2_b64 v[28:31], v245 offset1:143
	ds_read2_b64 v[36:39], v0 offset0:60 offset1:203
	ds_read_b64 v[52:53], v245 offset:6864
	v_cmp_gt_u16_e64 s[2:3], 52, v244
	v_cmp_lt_u16_e32 vcc, 51, v244
                                        ; implicit-def: $vgpr54
                                        ; implicit-def: $vgpr50
                                        ; implicit-def: $vgpr48_vgpr49
	s_and_saveexec_b64 s[0:1], vcc
	s_xor_b64 s[0:1], exec, s[0:1]
; %bb.8:
	v_mov_b32_e32 v48, v27
	v_mov_b32_e32 v54, v41
	;; [unrolled: 1-line block ×3, first 2 shown]
; %bb.9:
	s_andn2_saveexec_b64 s[0:1], s[0:1]
	s_cbranch_execz .LBB0_11
; %bb.10:
	v_add_u32_e32 v0, 0xa00, v245
	ds_read2_b64 v[0:3], v0 offset0:57 offset1:200
	ds_read2_b64 v[4:7], v245 offset0:91 offset1:234
	v_add_u32_e32 v10, 0x1400, v245
	ds_read_b64 v[8:9], v245 offset:7592
	ds_read2_b64 v[22:25], v10 offset0:23 offset1:166
	s_waitcnt lgkmcnt(3)
	v_mov_b32_e32 v44, v2
	s_waitcnt lgkmcnt(2)
	v_mov_b32_e32 v45, v7
	v_mov_b32_e32 v46, v3
	;; [unrolled: 1-line block ×3, first 2 shown]
	s_waitcnt lgkmcnt(0)
	v_mov_b32_e32 v26, v22
	v_mov_b32_e32 v27, v9
	;; [unrolled: 1-line block ×6, first 2 shown]
	v_mov_b64_e32 v[42:43], v[4:5]
	v_mov_b32_e32 v49, v8
.LBB0_11:
	s_or_b64 exec, exec, s[0:1]
	s_movk_i32 s0, 0x4f
	v_mul_lo_u16_sdwa v0, v244, s0 dst_sel:DWORD dst_unused:UNUSED_PAD src0_sel:BYTE_0 src1_sel:DWORD
	v_lshrrev_b16_e32 v80, 10, v0
	v_mul_lo_u16_e32 v0, 13, v80
	v_sub_u16_e32 v81, v244, v0
	v_mov_b32_e32 v0, 6
	v_mul_u32_u24_sdwa v1, v81, v0 dst_sel:DWORD dst_unused:UNUSED_PAD src0_sel:BYTE_0 src1_sel:DWORD
	v_lshlrev_b32_e32 v1, 3, v1
	global_load_dwordx4 v[12:15], v1, s[6:7] offset:32
	global_load_dwordx4 v[20:23], v1, s[6:7] offset:16
	global_load_dwordx4 v[16:19], v1, s[6:7]
	v_add_u16_e32 v1, 0x5b, v244
	v_mul_lo_u16_sdwa v2, v1, s0 dst_sel:DWORD dst_unused:UNUSED_PAD src0_sel:BYTE_0 src1_sel:DWORD
	v_lshrrev_b16_e32 v247, 10, v2
	v_mul_lo_u16_e32 v2, 13, v247
	v_sub_u16_e32 v254, v1, v2
	v_mul_u32_u24_sdwa v0, v254, v0 dst_sel:DWORD dst_unused:UNUSED_PAD src0_sel:BYTE_0 src1_sel:DWORD
	v_lshlrev_b32_e32 v25, 3, v0
	global_load_dwordx4 v[8:11], v25, s[6:7] offset:16
	global_load_dwordx4 v[0:3], v25, s[6:7]
	global_load_dwordx4 v[4:7], v25, s[6:7] offset:32
	v_mov_b32_e32 v55, v44
	v_mov_b32_e32 v51, v26
	;; [unrolled: 1-line block ×6, first 2 shown]
	s_mov_b32 s22, 0x3d64c772
	s_mov_b32 s23, 0x3f4a47b2
	;; [unrolled: 1-line block ×12, first 2 shown]
	s_load_dwordx4 s[8:11], s[8:9], 0x0
	s_waitcnt lgkmcnt(0)
	s_barrier
	s_waitcnt vmcnt(5)
	v_mul_f32_e32 v62, v39, v13
	s_waitcnt vmcnt(4)
	v_mul_f32_e32 v59, v36, v23
	v_mul_f32_e32 v57, v37, v22
	s_waitcnt vmcnt(3)
	v_mul_f32_e32 v60, v33, v19
	v_fma_f32 v60, v32, v18, -v60
	v_mul_f32_e32 v61, v35, v20
	v_mul_f32_e32 v63, v34, v21
	v_fma_f32 v62, v38, v12, -v62
	s_waitcnt vmcnt(2)
	v_mov_b32_e32 v84, v11
	v_mov_b32_e32 v85, v10
	s_waitcnt vmcnt(1)
	v_pk_mul_f32 v[10:11], v[44:45], v[0:1]
	s_waitcnt vmcnt(0)
	v_mul_f32_e32 v64, v24, v5
	v_mul_f32_e32 v10, v40, v3
	v_pk_mul_f32 v[66:67], v[26:27], v[6:7]
	v_mov_b32_e32 v70, v9
	v_mov_b32_e32 v71, v1
	;; [unrolled: 1-line block ×14, first 2 shown]
	v_fmac_f32_e32 v10, v54, v2
	v_fmac_f32_e32 v64, v50, v4
	v_mov_b32_e32 v90, v67
	v_pk_mul_f32 v[46:47], v[46:47], v[70:71]
	v_pk_mul_f32 v[54:55], v[54:55], v[74:75]
	v_mov_b32_e32 v67, v85
	v_mov_b32_e32 v78, v85
	v_pk_mul_f32 v[50:51], v[50:51], v[76:77]
	v_pk_mul_f32 v[48:49], v[48:49], v[86:87]
	v_mov_b32_e32 v88, v11
	v_pk_fma_f32 v[74:75], v[58:59], v[6:7], v[90:91] neg_lo:[0,0,1] neg_hi:[0,0,1]
	v_pk_fma_f32 v[90:91], v[44:45], v[68:69], v[46:47]
	v_pk_fma_f32 v[44:45], v[44:45], v[68:69], v[46:47] neg_lo:[0,0,1] neg_hi:[0,0,1]
	v_pk_fma_f32 v[46:47], v[40:41], v[8:9], v[54:55] op_sel:[0,1,0] op_sel_hi:[1,0,1]
	v_pk_fma_f32 v[40:41], v[40:41], v[72:73], v[54:55] neg_lo:[0,0,1] neg_hi:[0,0,1]
	v_pk_fma_f32 v[68:69], v[24:25], v[84:85], v[50:51]
	v_pk_fma_f32 v[24:25], v[24:25], v[66:67], v[50:51] neg_lo:[0,0,1] neg_hi:[0,0,1]
	v_pk_fma_f32 v[50:51], v[26:27], v[78:79], v[48:49]
	v_pk_fma_f32 v[26:27], v[26:27], v[78:79], v[48:49] neg_lo:[0,0,1] neg_hi:[0,0,1]
	v_pk_fma_f32 v[70:71], v[56:57], v[0:1], v[88:89] neg_lo:[0,0,1] neg_hi:[0,0,1]
	v_mov_b32_e32 v45, v91
	v_mov_b32_e32 v41, v47
	;; [unrolled: 1-line block ×6, first 2 shown]
	v_add_f32_e32 v89, v10, v64
	v_pk_add_f32 v[54:55], v[70:71], v[74:75]
	v_pk_add_f32 v[64:65], v[10:11], v[64:65] neg_lo:[0,1] neg_hi:[0,1]
	v_pk_add_f32 v[10:11], v[44:45], v[26:27]
	v_pk_add_f32 v[24:25], v[40:41], v[24:25]
	v_mov_b32_e32 v48, v91
	v_mov_b32_e32 v49, v70
	;; [unrolled: 1-line block ×10, first 2 shown]
	v_pk_add_f32 v[44:45], v[10:11], v[24:25] neg_lo:[0,1] neg_hi:[0,1]
	v_mov_b32_e32 v24, v54
	v_mov_b32_e32 v11, v89
	v_pk_add_f32 v[48:49], v[48:49], v[66:67] neg_lo:[0,1] neg_hi:[0,1]
	v_pk_add_f32 v[26:27], v[50:51], v[26:27] neg_lo:[0,1] neg_hi:[0,1]
	v_pk_add_f32 v[40:41], v[88:89], v[54:55]
	v_pk_add_f32 v[46:47], v[24:25], v[10:11] neg_lo:[0,1] neg_hi:[0,1]
	v_mov_b32_e32 v11, v25
	v_mov_b32_e32 v66, v26
	;; [unrolled: 1-line block ×5, first 2 shown]
	v_pk_add_f32 v[24:25], v[10:11], v[40:41]
	v_pk_add_f32 v[50:51], v[26:27], v[64:65]
	v_pk_add_f32 v[66:67], v[66:67], v[68:69] neg_lo:[0,1] neg_hi:[0,1]
	v_mov_b32_e32 v68, v48
	v_mov_b32_e32 v27, v65
	v_pk_add_f32 v[10:11], v[42:43], v[24:25]
	v_pk_mul_f32 v[46:47], v[46:47], s[24:25]
	v_pk_add_f32 v[26:27], v[68:69], v[26:27] neg_lo:[0,1] neg_hi:[0,1]
	v_pk_mul_f32 v[42:43], v[44:45], s[22:23]
	v_pk_fma_f32 v[24:25], v[24:25], s[20:21], v[10:11] op_sel_hi:[1,0,1] neg_lo:[1,0,0] neg_hi:[1,0,0]
	v_pk_fma_f32 v[44:45], v[44:45], s[22:23], v[46:47]
	v_pk_add_f32 v[40:41], v[50:51], v[48:49]
	v_pk_mul_f32 v[26:27], v[26:27], s[26:27]
	v_pk_mul_f32 v[50:51], v[66:67], s[28:29]
	v_pk_add_f32 v[68:69], v[44:45], v[24:25]
	v_pk_add_f32 v[44:45], v[88:89], v[54:55] neg_lo:[0,1] neg_hi:[0,1]
	v_mov_b32_e32 v54, v42
	v_mov_b32_e32 v55, v47
	v_mov_b32_e32 v47, v43
	v_pk_add_f32 v[48:49], v[64:65], v[48:49] neg_lo:[0,1] neg_hi:[0,1]
	v_pk_fma_f32 v[54:55], v[44:45], s[18:19], v[54:55] op_sel_hi:[1,0,1] neg_lo:[0,0,1] neg_hi:[0,0,1]
	v_pk_fma_f32 v[42:43], v[44:45], s[18:19], v[46:47] op_sel_hi:[1,0,1] neg_lo:[1,0,1] neg_hi:[1,0,1]
	v_mov_b32_e32 v44, v50
	v_mov_b32_e32 v45, v27
	v_pk_fma_f32 v[66:67], v[66:67], s[28:29], v[26:27]
	v_pk_fma_f32 v[44:45], v[48:49], s[16:17], v[44:45] op_sel_hi:[1,0,1] neg_lo:[0,0,1] neg_hi:[0,0,1]
	v_mov_b32_e32 v27, v51
	v_pk_fma_f32 v[66:67], v[40:41], s[0:1], v[66:67] op_sel_hi:[1,0,1]
	v_pk_fma_f32 v[26:27], v[48:49], s[16:17], v[26:27] op_sel_hi:[1,0,1] neg_lo:[1,0,1] neg_hi:[1,0,1]
	v_pk_add_f32 v[46:47], v[54:55], v[24:25]
	v_pk_fma_f32 v[44:45], v[40:41], s[0:1], v[44:45] op_sel_hi:[1,0,1]
	v_pk_add_f32 v[42:43], v[42:43], v[24:25]
	v_pk_fma_f32 v[26:27], v[40:41], s[0:1], v[26:27] op_sel_hi:[1,0,1]
	v_pk_add_f32 v[24:25], v[46:47], v[44:45]
	v_pk_add_f32 v[40:41], v[46:47], v[44:45] neg_lo:[0,1] neg_hi:[0,1]
	v_pk_add_f32 v[46:47], v[68:69], v[66:67]
	v_pk_add_f32 v[54:55], v[68:69], v[66:67] neg_lo:[0,1] neg_hi:[0,1]
	v_pk_mul_f32 v[66:67], v[30:31], v[16:17] op_sel_hi:[1,0]
	v_mov_b32_e32 v70, v18
	v_pk_fma_f32 v[68:69], v[30:31], v[16:17], v[66:67] op_sel:[0,1,1] op_sel_hi:[1,1,0]
	v_pk_fma_f32 v[30:31], v[30:31], v[16:17], v[66:67] op_sel:[0,1,1] op_sel_hi:[1,1,0] neg_lo:[1,0,0] neg_hi:[1,0,0]
	v_mov_b32_e32 v66, v33
	v_mov_b32_e32 v67, v36
	;; [unrolled: 1-line block ×6, first 2 shown]
	v_pk_mul_f32 v[32:33], v[32:33], v[36:37]
	v_mov_b32_e32 v48, v24
	v_mul_u32_u24_e32 v24, 0x5b, v80
	v_pk_fma_f32 v[36:37], v[66:67], v[18:19], v[32:33]
	v_pk_fma_f32 v[32:33], v[66:67], v[70:71], v[32:33] neg_lo:[0,0,1] neg_hi:[0,0,1]
	v_mov_b32_e32 v66, v39
	v_mov_b32_e32 v67, v34
	;; [unrolled: 1-line block ×5, first 2 shown]
	v_add_u32_sdwa v24, v24, v81 dst_sel:DWORD dst_unused:UNUSED_PAD src0_sel:DWORD src1_sel:BYTE_0
	v_mov_b32_e32 v70, v12
	v_mov_b32_e32 v71, v20
	v_pk_mul_f32 v[34:35], v[38:39], v[34:35]
	v_add_lshl_u32 v249, v186, v24, 3
	v_pk_fma_f32 v[38:39], v[66:67], v[12:13], v[34:35]
	v_pk_fma_f32 v[34:35], v[66:67], v[70:71], v[34:35] neg_lo:[0,0,1] neg_hi:[0,0,1]
	v_pk_mul_f32 v[66:67], v[52:53], v[14:15] op_sel_hi:[1,0]
	v_mov_b32_e32 v24, v15
	v_pk_fma_f32 v[70:71], v[52:53], v[24:25], v[66:67] op_sel:[0,0,1] op_sel_hi:[1,0,0]
	v_pk_fma_f32 v[52:53], v[52:53], v[24:25], v[66:67] op_sel:[0,0,1] op_sel_hi:[1,0,0] neg_lo:[1,0,0] neg_hi:[1,0,0]
	v_mov_b32_e32 v69, v31
	v_mov_b32_e32 v37, v33
	;; [unrolled: 1-line block ×6, first 2 shown]
	v_pk_add_f32 v[64:65], v[60:61], v[62:63]
	v_pk_add_f32 v[66:67], v[68:69], v[70:71]
	v_pk_add_f32 v[68:69], v[68:69], v[70:71] neg_lo:[0,1] neg_hi:[0,1]
	v_pk_add_f32 v[70:71], v[36:37], v[38:39]
	v_pk_add_f32 v[30:31], v[56:57], v[58:59]
	v_pk_add_f32 v[36:37], v[36:37], v[38:39] neg_lo:[0,1] neg_hi:[0,1]
	v_mov_b32_e32 v38, v31
	v_mov_b32_e32 v39, v60
	;; [unrolled: 1-line block ×8, first 2 shown]
	v_pk_add_f32 v[38:39], v[38:39], v[52:53] neg_lo:[0,1] neg_hi:[0,1]
	v_pk_add_f32 v[62:63], v[64:65], v[30:31]
	v_pk_add_f32 v[32:33], v[34:35], v[32:33]
	v_mov_b32_e32 v58, v38
	v_mov_b32_e32 v59, v69
	;; [unrolled: 1-line block ×7, first 2 shown]
	v_pk_add_f32 v[58:59], v[58:59], v[36:37] neg_lo:[0,1] neg_hi:[0,1]
	v_pk_add_f32 v[34:35], v[34:35], v[64:65] neg_lo:[0,1] neg_hi:[0,1]
	v_mov_b32_e32 v31, v63
	v_mov_b32_e32 v72, v32
	;; [unrolled: 1-line block ×3, first 2 shown]
	v_pk_add_f32 v[32:33], v[62:63], v[32:33]
	v_pk_add_f32 v[52:53], v[52:53], v[38:39] neg_lo:[0,1] neg_hi:[0,1]
	v_pk_mul_f32 v[58:59], v[58:59], s[28:29]
	v_pk_add_f32 v[60:61], v[36:37], v[38:39]
	v_pk_add_f32 v[72:73], v[30:31], v[72:73] neg_lo:[0,1] neg_hi:[0,1]
	v_pk_add_f32 v[28:29], v[28:29], v[32:33]
	v_pk_mul_f32 v[34:35], v[34:35], s[22:23]
	v_pk_mul_f32 v[56:57], v[52:53], s[26:27]
	v_pk_add_f32 v[60:61], v[60:61], v[68:69]
	v_pk_mul_f32 v[62:63], v[72:73], s[24:25]
	v_pk_fma_f32 v[32:33], v[32:33], s[20:21], v[28:29] op_sel_hi:[1,0,1] neg_lo:[1,0,0] neg_hi:[1,0,0]
	v_pk_fma_f32 v[72:73], v[72:73], s[24:25], v[34:35]
	v_pk_fma_f32 v[52:53], v[52:53], s[26:27], v[58:59]
	v_pk_add_f32 v[72:73], v[72:73], v[32:33]
	v_pk_fma_f32 v[52:53], v[60:61], s[0:1], v[52:53] op_sel_hi:[1,0,1]
	v_mov_b32_e32 v37, v39
	v_pk_add_f32 v[74:75], v[72:73], v[52:53]
	v_pk_add_f32 v[52:53], v[72:73], v[52:53] neg_lo:[0,1] neg_hi:[0,1]
	v_mov_b32_e32 v72, v74
	v_mov_b32_e32 v73, v53
	;; [unrolled: 1-line block ×4, first 2 shown]
	ds_write2_b64 v249, v[28:29], v[72:73] offset1:13
	v_pk_add_f32 v[28:29], v[36:37], v[68:69] neg_lo:[0,1] neg_hi:[0,1]
	v_pk_add_f32 v[30:31], v[64:65], v[30:31] neg_lo:[0,1] neg_hi:[0,1]
	v_mov_b32_e32 v36, v62
	v_mov_b32_e32 v37, v35
	;; [unrolled: 1-line block ×6, first 2 shown]
	v_pk_fma_f32 v[36:37], v[30:31], s[18:19], v[36:37] op_sel_hi:[1,0,1] neg_lo:[1,0,1] neg_hi:[1,0,1]
	v_pk_fma_f32 v[38:39], v[28:29], s[16:17], v[38:39] op_sel_hi:[1,0,1] neg_lo:[1,0,1] neg_hi:[1,0,1]
	v_pk_fma_f32 v[30:31], v[30:31], s[18:19], v[34:35] op_sel_hi:[1,0,1] neg_lo:[0,0,1] neg_hi:[0,0,1]
	v_pk_fma_f32 v[28:29], v[28:29], s[16:17], v[58:59] op_sel_hi:[1,0,1] neg_lo:[0,0,1] neg_hi:[0,0,1]
	v_pk_add_f32 v[36:37], v[36:37], v[32:33]
	v_pk_fma_f32 v[38:39], v[60:61], s[0:1], v[38:39] op_sel_hi:[1,0,1]
	v_pk_add_f32 v[30:31], v[30:31], v[32:33]
	v_pk_fma_f32 v[28:29], v[60:61], s[0:1], v[28:29] op_sel_hi:[1,0,1]
	v_pk_add_f32 v[44:45], v[42:43], v[26:27] neg_lo:[0,1] neg_hi:[0,1]
	v_pk_add_f32 v[42:43], v[42:43], v[26:27]
	v_pk_add_f32 v[64:65], v[36:37], v[38:39]
	v_pk_add_f32 v[36:37], v[36:37], v[38:39] neg_lo:[0,1] neg_hi:[0,1]
	v_pk_add_f32 v[32:33], v[30:31], v[28:29] neg_lo:[0,1] neg_hi:[0,1]
	v_pk_add_f32 v[28:29], v[30:31], v[28:29]
	v_mov_b32_e32 v49, v41
	v_mov_b32_e32 v50, v44
	;; [unrolled: 1-line block ×12, first 2 shown]
	ds_write2_b64 v249, v[38:39], v[30:31] offset0:26 offset1:39
	ds_write2_b64 v249, v[28:29], v[36:37] offset0:52 offset1:65
	ds_write_b64 v249, v[52:53] offset:624
	s_and_saveexec_b64 s[0:1], s[2:3]
	s_cbranch_execz .LBB0_13
; %bb.12:
	v_mul_u32_u24_e32 v24, 0x5b, v247
	v_add_u32_sdwa v24, v24, v254 dst_sel:DWORD dst_unused:UNUSED_PAD src0_sel:DWORD src1_sel:BYTE_0
	v_add_lshl_u32 v24, v186, v24, 3
	v_mov_b32_e32 v47, v55
	v_mov_b32_e32 v43, v45
	;; [unrolled: 1-line block ×3, first 2 shown]
	ds_write2_b64 v24, v[10:11], v[46:47] offset1:13
	ds_write2_b64 v24, v[42:43], v[40:41] offset0:26 offset1:39
	ds_write2_b64 v24, v[48:49], v[50:51] offset0:52 offset1:65
	ds_write_b64 v24, v[26:27] offset:624
.LBB0_13:
	s_or_b64 exec, exec, s[0:1]
	s_movk_i32 s0, 0x50
	v_mov_b64_e32 v[10:11], s[6:7]
	v_mad_u64_u32 v[10:11], s[0:1], v244, s0, v[10:11]
	s_waitcnt lgkmcnt(0)
	s_barrier
	global_load_dwordx4 v[28:31], v[10:11], off offset:688
	global_load_dwordx4 v[44:47], v[10:11], off offset:640
	;; [unrolled: 1-line block ×5, first 2 shown]
	v_add_u32_e32 v56, 0x1800, v245
	v_add_u32_e32 v68, 0xc00, v245
	;; [unrolled: 1-line block ×4, first 2 shown]
	ds_read_b64 v[24:25], v245
	ds_read2_b64 v[52:55], v245 offset0:91 offset1:182
	ds_read2_b64 v[56:59], v56 offset0:51 offset1:142
	;; [unrolled: 1-line block ×5, first 2 shown]
	s_mov_b32 s16, 0xbf4178ce
	s_mov_b32 s6, 0xbf27a4f4
	;; [unrolled: 1-line block ×14, first 2 shown]
	v_lshl_add_u32 v248, v244, 3, v82
	v_accvgpr_write_b32 a3, v82
	s_waitcnt vmcnt(4) lgkmcnt(3)
	v_pk_mul_f32 v[76:77], v[58:59], v[30:31] op_sel:[1,0] op_sel_hi:[0,1]
	v_mov_b32_e32 v10, v29
	v_pk_mul_f32 v[72:73], v[56:57], v[28:29] op_sel:[1,0] op_sel_hi:[0,1]
	v_mov_b32_e32 v74, v31
	s_waitcnt vmcnt(3)
	v_mov_b32_e32 v76, v47
	s_waitcnt vmcnt(2) lgkmcnt(0)
	v_pk_mul_f32 v[78:79], v[68:69], v[40:41] op_sel:[0,1]
	v_mov_b32_e32 v86, v43
	s_waitcnt vmcnt(1)
	v_pk_mul_f32 v[88:89], v[64:65], v[36:37] op_sel:[0,1]
	s_waitcnt vmcnt(0)
	v_pk_mul_f32 v[90:91], v[52:53], v[32:33] op_sel:[0,1]
	v_mov_b32_e32 v92, v35
	v_pk_mul_f32 v[10:11], v[56:57], v[10:11] op_sel:[1,0] op_sel_hi:[0,1]
	v_mov_b32_e32 v73, v72
	v_pk_mul_f32 v[74:75], v[58:59], v[74:75] op_sel:[1,0] op_sel_hi:[0,1]
	v_mov_b32_e32 v72, v77
	v_pk_mul_f32 v[76:77], v[62:63], v[76:77] op_sel_hi:[1,0]
	v_pk_fma_f32 v[98:99], v[68:69], v[40:41], v[78:79] op_sel:[0,0,1] op_sel_hi:[1,1,0] neg_lo:[0,0,1] neg_hi:[0,0,1]
	v_pk_fma_f32 v[68:69], v[68:69], v[40:41], v[78:79] op_sel:[0,0,1] op_sel_hi:[1,0,0]
	v_pk_mul_f32 v[78:79], v[70:71], v[86:87] op_sel_hi:[1,0]
	v_pk_fma_f32 v[86:87], v[64:65], v[36:37], v[88:89] op_sel:[0,0,1] op_sel_hi:[1,1,0] neg_lo:[0,0,1] neg_hi:[0,0,1]
	v_pk_fma_f32 v[64:65], v[64:65], v[36:37], v[88:89] op_sel:[0,0,1] op_sel_hi:[1,0,0]
	v_pk_fma_f32 v[88:89], v[52:53], v[32:33], v[90:91] op_sel:[0,0,1] op_sel_hi:[1,0,0] neg_lo:[0,0,1] neg_hi:[0,0,1]
	v_pk_fma_f32 v[52:53], v[52:53], v[32:33], v[90:91] op_sel:[0,0,1] op_sel_hi:[1,0,0]
	v_pk_mul_f32 v[90:91], v[54:55], v[92:93] op_sel_hi:[1,0]
	v_pk_mul_f32 v[94:95], v[60:61], v[44:45] op_sel:[0,1]
	v_pk_fma_f32 v[10:11], v[56:57], v[28:29], v[10:11] neg_lo:[0,0,1] neg_hi:[0,0,1]
	v_pk_fma_f32 v[56:57], v[56:57], v[28:29], v[72:73] op_sel:[1,0,0] op_sel_hi:[0,1,1]
	v_pk_fma_f32 v[74:75], v[58:59], v[30:31], v[74:75] neg_lo:[0,0,1] neg_hi:[0,0,1]
	v_pk_fma_f32 v[58:59], v[58:59], v[30:31], v[72:73] op_sel:[1,0,0] op_sel_hi:[0,1,1]
	v_pk_fma_f32 v[72:73], v[62:63], v[46:47], v[76:77] op_sel:[0,0,1] op_sel_hi:[1,1,0] neg_lo:[0,0,1] neg_hi:[0,0,1]
	v_pk_fma_f32 v[62:63], v[62:63], v[46:47], v[76:77] op_sel:[0,0,1] op_sel_hi:[1,0,0]
	v_mov_b32_e32 v87, v65
	v_mov_b32_e32 v64, v88
	;; [unrolled: 1-line block ×3, first 2 shown]
	v_pk_fma_f32 v[76:77], v[54:55], v[34:35], v[90:91] op_sel:[0,0,1] op_sel_hi:[1,1,0] neg_lo:[0,0,1] neg_hi:[0,0,1]
	v_pk_fma_f32 v[54:55], v[54:55], v[34:35], v[90:91] op_sel:[0,0,1] op_sel_hi:[1,0,0]
	v_pk_fma_f32 v[92:93], v[60:61], v[44:45], v[94:95] op_sel:[0,0,1] op_sel_hi:[1,1,0] neg_lo:[0,0,1] neg_hi:[0,0,1]
	v_pk_fma_f32 v[60:61], v[60:61], v[44:45], v[94:95] op_sel:[0,0,1] op_sel_hi:[1,0,0]
	v_mov_b32_e32 v77, v55
	v_pk_add_f32 v[54:55], v[24:25], v[64:65]
	v_mov_b32_e32 v93, v61
	v_pk_add_f32 v[54:55], v[54:55], v[76:77]
	;; [unrolled: 2-line block ×3, first 2 shown]
	v_mov_b32_e32 v99, v69
	v_pk_fma_f32 v[68:69], v[70:71], v[42:43], v[78:79] op_sel:[0,0,1] op_sel_hi:[1,1,0] neg_lo:[0,0,1] neg_hi:[0,0,1]
	v_pk_fma_f32 v[70:71], v[70:71], v[42:43], v[78:79] op_sel:[0,0,1] op_sel_hi:[1,0,0]
	v_pk_add_f32 v[54:55], v[54:55], v[72:73]
	v_mov_b32_e32 v96, v39
	v_mov_b32_e32 v69, v71
	v_pk_add_f32 v[54:55], v[54:55], v[98:99]
	v_pk_mul_f32 v[94:95], v[66:67], v[96:97] op_sel_hi:[1,0]
	v_pk_add_f32 v[54:55], v[54:55], v[68:69]
	v_pk_add_f32 v[112:113], v[72:73], v[86:87]
	v_pk_add_f32 v[72:73], v[72:73], v[86:87] neg_lo:[0,1] neg_hi:[0,1]
	v_pk_fma_f32 v[60:61], v[66:67], v[38:39], v[94:95] op_sel:[0,0,1] op_sel_hi:[1,1,0] neg_lo:[0,0,1] neg_hi:[0,0,1]
	v_pk_fma_f32 v[66:67], v[66:67], v[38:39], v[94:95] op_sel:[0,0,1] op_sel_hi:[1,0,0]
	v_pk_add_f32 v[54:55], v[54:55], v[86:87]
	v_pk_mul_f32 v[86:87], v[72:73], s[16:17] op_sel:[1,0] op_sel_hi:[0,0]
	v_mov_b32_e32 v11, v57
	v_mov_b32_e32 v61, v67
	v_pk_fma_f32 v[114:115], v[112:113], s[6:7], v[86:87] op_sel_hi:[1,0,1]
	v_pk_fma_f32 v[86:87], v[112:113], s[6:7], v[86:87] op_sel_hi:[1,0,1] neg_lo:[0,0,1] neg_hi:[0,0,1]
	v_mov_b32_e32 v56, v74
	v_pk_add_f32 v[64:65], v[76:77], v[10:11] neg_lo:[0,1] neg_hi:[0,1]
	v_pk_add_f32 v[54:55], v[54:55], v[60:61]
	v_pk_add_f32 v[90:91], v[92:93], v[60:61]
	v_pk_add_f32 v[60:61], v[92:93], v[60:61] neg_lo:[0,1] neg_hi:[0,1]
	v_mov_b32_e32 v116, v114
	v_mov_b32_e32 v117, v87
	;; [unrolled: 1-line block ×3, first 2 shown]
	v_pk_add_f32 v[114:115], v[88:89], v[74:75]
	v_pk_add_f32 v[74:75], v[88:89], v[74:75] neg_lo:[0,1] neg_hi:[0,1]
	v_pk_add_f32 v[88:89], v[52:53], v[58:59] op_sel:[1,0] neg_lo:[0,1] neg_hi:[0,1]
	v_pk_add_f32 v[62:63], v[76:77], v[10:11]
	v_pk_mul_f32 v[66:67], v[64:65], s[28:29] op_sel:[1,0] op_sel_hi:[0,0]
	v_pk_mul_f32 v[106:107], v[60:61], s[22:23] op_sel:[1,0] op_sel_hi:[0,0]
	;; [unrolled: 1-line block ×5, first 2 shown]
	v_pk_add_f32 v[138:139], v[52:53], v[58:59] op_sel_hi:[1,0]
	v_mov_b32_e32 v144, v88
	v_mov_b32_e32 v145, v74
	v_pk_fma_f32 v[70:71], v[62:63], s[0:1], v[66:67] op_sel_hi:[1,0,1]
	v_pk_fma_f32 v[66:67], v[62:63], s[0:1], v[66:67] op_sel_hi:[1,0,1] neg_lo:[0,0,1] neg_hi:[0,0,1]
	v_pk_fma_f32 v[108:109], v[90:91], s[0:1], v[106:107] op_sel_hi:[1,0,1]
	v_pk_fma_f32 v[106:107], v[90:91], s[0:1], v[106:107] op_sel_hi:[1,0,1] neg_lo:[0,0,1] neg_hi:[0,0,1]
	;; [unrolled: 2-line block ×5, first 2 shown]
	v_pk_mul_f32 v[112:113], v[112:113], s[0:1] op_sel_hi:[1,0]
	v_mov_b32_e32 v115, v74
	s_mov_b32 s1, s28
	v_mov_b32_e32 v142, v114
	v_mov_b32_e32 v143, v139
	v_pk_mul_f32 v[74:75], v[144:145], s[36:37] op_sel_hi:[1,0]
	v_mov_b32_e32 v138, v88
	s_mov_b32 s29, s0
	v_pk_mul_f32 v[52:53], v[114:115], s[0:1]
	v_pk_fma_f32 v[144:145], v[142:143], s[30:31], v[74:75] op_sel_hi:[1,0,1]
	v_pk_fma_f32 v[74:75], v[142:143], s[30:31], v[74:75] op_sel_hi:[1,0,1] neg_lo:[0,0,1] neg_hi:[0,0,1]
	v_mov_b32_e32 v57, v58
	v_pk_add_f32 v[10:11], v[54:55], v[10:11]
	v_pk_mul_f32 v[54:55], v[64:65], s[16:17] op_sel:[1,0] op_sel_hi:[0,0]
	v_pk_mul_f32 v[92:93], v[60:61], s[18:19] op_sel:[1,0] op_sel_hi:[0,0]
	v_pk_fma_f32 v[58:59], v[88:89], s[28:29], v[52:53] neg_lo:[1,0,0] neg_hi:[1,0,0]
	v_pk_fma_f32 v[140:141], v[138:139], s[28:29], v[52:53]
	v_mov_b32_e32 v142, v144
	v_mov_b32_e32 v143, v75
	;; [unrolled: 1-line block ×4, first 2 shown]
	v_pk_add_f32 v[10:11], v[10:11], v[56:57]
	v_pk_fma_f32 v[56:57], v[62:63], s[6:7], v[54:55] op_sel_hi:[1,0,1]
	v_pk_fma_f32 v[54:55], v[62:63], s[6:7], v[54:55] op_sel_hi:[1,0,1] neg_lo:[0,0,1] neg_hi:[0,0,1]
	v_pk_fma_f32 v[94:95], v[90:91], s[20:21], v[92:93] op_sel_hi:[1,0,1]
	v_pk_fma_f32 v[92:93], v[90:91], s[20:21], v[92:93] op_sel_hi:[1,0,1] neg_lo:[0,0,1] neg_hi:[0,0,1]
	v_pk_mul_f32 v[100:101], v[60:61], s[26:27] op_sel:[1,0] op_sel_hi:[0,0]
	v_pk_fma_f32 v[136:137], v[72:73], s[22:23], v[112:113] op_sel:[1,0,0] op_sel_hi:[0,0,1] neg_lo:[1,0,0] neg_hi:[1,0,0]
	v_pk_fma_f32 v[72:73], v[72:73], s[22:23], v[112:113] op_sel:[1,0,0] op_sel_hi:[0,0,1]
	v_mov_b32_e32 v59, v141
	v_pk_add_f32 v[142:143], v[24:25], v[142:143]
	v_mov_b32_e32 v79, v55
	v_mov_b32_e32 v96, v94
	;; [unrolled: 1-line block ×3, first 2 shown]
	v_pk_fma_f32 v[102:103], v[90:91], s[24:25], v[100:101] op_sel_hi:[1,0,1]
	v_pk_fma_f32 v[100:101], v[90:91], s[24:25], v[100:101] op_sel_hi:[1,0,1] neg_lo:[0,0,1] neg_hi:[0,0,1]
	v_mov_b32_e32 v112, v136
	v_mov_b32_e32 v113, v73
	;; [unrolled: 1-line block ×3, first 2 shown]
	v_pk_add_f32 v[136:137], v[98:99], v[68:69]
	v_pk_add_f32 v[98:99], v[98:99], v[68:69] neg_lo:[0,1] neg_hi:[0,1]
	v_pk_fma_f32 v[52:53], v[138:139], s[28:29], v[52:53] neg_lo:[0,0,1] neg_hi:[0,0,1]
	v_pk_add_f32 v[58:59], v[24:25], v[58:59]
	v_pk_add_f32 v[76:77], v[76:77], v[142:143]
	v_mov_b32_e32 v55, v57
	v_mov_b32_e32 v78, v56
	;; [unrolled: 1-line block ×3, first 2 shown]
	v_pk_mul_f32 v[68:69], v[98:99], s[38:39] op_sel:[1,0] op_sel_hi:[0,0]
	v_mov_b32_e32 v141, v53
	v_pk_add_f32 v[54:55], v[54:55], v[58:59]
	v_pk_add_f32 v[56:57], v[96:97], v[76:77]
	v_mov_b32_e32 v101, v103
	v_pk_mul_f32 v[96:97], v[60:61], s[16:17] op_sel:[1,0] op_sel_hi:[0,0]
	v_mov_b32_e32 v67, v71
	v_pk_fma_f32 v[70:71], v[136:137], s[24:25], v[68:69] op_sel_hi:[1,0,1] neg_lo:[0,0,1] neg_hi:[0,0,1]
	v_pk_fma_f32 v[68:69], v[136:137], s[24:25], v[68:69] op_sel_hi:[1,0,1]
	v_pk_add_f32 v[52:53], v[24:25], v[140:141]
	v_pk_add_f32 v[54:55], v[100:101], v[54:55]
	v_pk_mul_f32 v[58:59], v[64:65], s[40:41] op_sel:[1,0] op_sel_hi:[0,0]
	v_pk_fma_f32 v[100:101], v[90:91], s[6:7], v[96:97] op_sel_hi:[1,0,1] neg_lo:[0,0,1] neg_hi:[0,0,1]
	v_pk_fma_f32 v[96:97], v[90:91], s[6:7], v[96:97] op_sel_hi:[1,0,1]
	s_mov_b32 s25, s38
	v_mov_b32_e32 v104, v102
	v_pk_add_f32 v[52:53], v[78:79], v[52:53]
	v_pk_fma_f32 v[76:77], v[62:63], s[30:31], v[58:59] op_sel_hi:[1,0,1] neg_lo:[0,0,1] neg_hi:[0,0,1]
	v_pk_fma_f32 v[58:59], v[62:63], s[30:31], v[58:59] op_sel_hi:[1,0,1]
	v_mov_b32_e32 v102, v100
	v_mov_b32_e32 v103, v97
	;; [unrolled: 1-line block ×3, first 2 shown]
	s_mov_b32 s39, s24
	v_pk_mul_f32 v[100:101], v[114:115], s[24:25]
	v_pk_add_f32 v[52:53], v[104:105], v[52:53]
	v_mov_b32_e32 v78, v76
	v_mov_b32_e32 v79, v59
	v_pk_fma_f32 v[104:105], v[88:89], s[38:39], v[100:101] neg_lo:[1,0,0] neg_hi:[1,0,0]
	v_pk_fma_f32 v[140:141], v[138:139], s[38:39], v[100:101]
	v_mov_b32_e32 v59, v77
	v_pk_fma_f32 v[76:77], v[138:139], s[38:39], v[100:101] neg_lo:[0,0,1] neg_hi:[0,0,1]
	v_mov_b32_e32 v105, v141
	v_mov_b32_e32 v141, v77
	v_pk_add_f32 v[76:77], v[24:25], v[140:141]
	v_mov_b32_e32 v123, v119
	v_pk_add_f32 v[104:105], v[24:25], v[104:105]
	v_pk_add_f32 v[58:59], v[58:59], v[76:77]
	v_mov_b32_e32 v119, v121
	v_pk_add_f32 v[78:79], v[78:79], v[104:105]
	v_pk_add_f32 v[58:59], v[96:97], v[58:59]
	;; [unrolled: 1-line block ×3, first 2 shown]
	v_pk_mul_f32 v[54:55], v[64:65], s[34:35] op_sel:[1,0] op_sel_hi:[0,0]
	v_pk_add_f32 v[76:77], v[102:103], v[78:79]
	v_pk_add_f32 v[78:79], v[116:117], v[56:57]
	v_pk_fma_f32 v[56:57], v[62:63], s[20:21], v[54:55] op_sel_hi:[1,0,1] neg_lo:[0,0,1] neg_hi:[0,0,1]
	v_pk_fma_f32 v[54:55], v[62:63], s[20:21], v[54:55] op_sel_hi:[1,0,1]
	v_mov_b32_e32 v100, v56
	v_mov_b32_e32 v101, v55
	;; [unrolled: 1-line block ×3, first 2 shown]
	v_pk_mul_f32 v[56:57], v[60:61], s[36:37] op_sel:[1,0] op_sel_hi:[0,0]
	v_pk_fma_f32 v[60:61], v[90:91], s[30:31], v[56:57] op_sel_hi:[1,0,1] neg_lo:[0,0,1] neg_hi:[0,0,1]
	v_pk_fma_f32 v[56:57], v[90:91], s[30:31], v[56:57] op_sel_hi:[1,0,1]
	s_mov_b32 s7, s16
	v_mov_b32_e32 v90, v60
	v_mov_b32_e32 v91, v57
	;; [unrolled: 1-line block ×3, first 2 shown]
	s_mov_b32 s17, s6
	v_pk_mul_f32 v[60:61], v[114:115], s[6:7]
	v_mov_b32_e32 v134, v132
	v_pk_fma_f32 v[102:103], v[88:89], s[16:17], v[60:61] neg_lo:[1,0,0] neg_hi:[1,0,0]
	v_pk_fma_f32 v[104:105], v[138:139], s[16:17], v[60:61]
	v_pk_fma_f32 v[60:61], v[138:139], s[16:17], v[60:61] neg_lo:[0,0,1] neg_hi:[0,0,1]
	v_mov_b32_e32 v103, v105
	v_mov_b32_e32 v105, v61
	v_pk_add_f32 v[60:61], v[24:25], v[104:105]
	v_pk_add_f32 v[102:103], v[24:25], v[102:103]
	;; [unrolled: 1-line block ×3, first 2 shown]
	v_mov_b32_e32 v135, v131
	v_pk_add_f32 v[100:101], v[100:101], v[102:103]
	v_pk_add_f32 v[54:55], v[56:57], v[54:55]
	v_mov_b32_e32 v75, v145
	v_pk_add_f32 v[60:61], v[90:91], v[100:101]
	v_pk_add_f32 v[90:91], v[134:135], v[54:55]
	;; [unrolled: 1-line block ×3, first 2 shown]
	v_mov_b32_e32 v93, v95
	v_pk_add_f32 v[54:55], v[66:67], v[54:55]
	v_mov_b32_e32 v94, v70
	v_pk_add_f32 v[54:55], v[92:93], v[54:55]
	v_mov_b32_e32 v95, v69
	v_mov_b32_e32 v69, v71
	v_pk_mul_f32 v[70:71], v[98:99], s[40:41] op_sel:[1,0] op_sel_hi:[0,0]
	v_pk_add_f32 v[54:55], v[86:87], v[54:55]
	v_mov_b32_e32 v122, v120
	v_pk_add_f32 v[56:57], v[94:95], v[54:55]
	v_pk_add_f32 v[54:55], v[68:69], v[78:79]
	v_pk_fma_f32 v[66:67], v[136:137], s[30:31], v[70:71] op_sel_hi:[1,0,1] neg_lo:[0,0,1] neg_hi:[0,0,1]
	v_pk_fma_f32 v[68:69], v[136:137], s[30:31], v[70:71] op_sel_hi:[1,0,1]
	v_pk_add_f32 v[52:53], v[122:123], v[52:53]
	v_pk_add_f32 v[100:101], v[72:73], v[58:59]
	v_mov_b32_e32 v59, v69
	v_mov_b32_e32 v69, v67
	v_pk_mul_f32 v[64:65], v[64:65], s[26:27] op_sel:[1,0] op_sel_hi:[0,0]
	v_pk_add_f32 v[52:53], v[68:69], v[52:53]
	v_pk_fma_f32 v[68:69], v[62:63], s[24:25], v[64:65] op_sel_hi:[1,0,1] neg_lo:[0,0,1] neg_hi:[0,0,1]
	v_pk_fma_f32 v[62:63], v[62:63], s[24:25], v[64:65] op_sel_hi:[1,0,1]
	s_mov_b32 s21, s18
	v_mov_b32_e32 v64, v68
	v_mov_b32_e32 v65, v63
	v_mov_b32_e32 v63, v69
	s_mov_b32 s19, s20
	v_pk_mul_f32 v[68:69], v[114:115], s[20:21]
	v_mov_b32_e32 v110, v108
	v_pk_fma_f32 v[70:71], v[88:89], s[18:19], v[68:69] neg_lo:[1,0,0] neg_hi:[1,0,0]
	v_pk_fma_f32 v[72:73], v[138:139], s[18:19], v[68:69]
	v_pk_fma_f32 v[68:69], v[138:139], s[18:19], v[68:69] neg_lo:[0,0,1] neg_hi:[0,0,1]
	v_mov_b32_e32 v71, v73
	v_mov_b32_e32 v73, v69
	v_pk_add_f32 v[70:71], v[24:25], v[70:71]
	v_pk_add_f32 v[24:25], v[24:25], v[72:73]
	v_mov_b32_e32 v111, v107
	v_mov_b32_e32 v58, v66
	v_pk_mul_f32 v[66:67], v[98:99], s[16:17] op_sel:[1,0] op_sel_hi:[0,0]
	v_mov_b32_e32 v107, v109
	v_pk_add_f32 v[64:65], v[64:65], v[70:71]
	v_pk_add_f32 v[24:25], v[62:63], v[24:25]
	v_mov_b32_e32 v128, v126
	v_mov_b32_e32 v129, v125
	v_pk_add_f32 v[62:63], v[106:107], v[64:65]
	v_pk_add_f32 v[24:25], v[110:111], v[24:25]
	v_pk_fma_f32 v[64:65], v[136:137], s[6:7], v[66:67] op_sel_hi:[1,0,1] neg_lo:[0,0,1] neg_hi:[0,0,1]
	v_pk_fma_f32 v[66:67], v[136:137], s[6:7], v[66:67] op_sel_hi:[1,0,1]
	v_mov_b32_e32 v125, v127
	v_pk_add_f32 v[24:25], v[128:129], v[24:25]
	v_mov_b32_e32 v69, v67
	v_mov_b32_e32 v67, v65
	v_pk_add_f32 v[62:63], v[124:125], v[62:63]
	v_mov_b32_e32 v68, v64
	v_pk_add_f32 v[66:67], v[66:67], v[24:25]
	v_pk_mul_f32 v[24:25], v[136:137], s[0:1] op_sel_hi:[1,0]
	v_mov_b32_e32 v131, v133
	v_pk_add_f32 v[68:69], v[68:69], v[62:63]
	v_pk_fma_f32 v[62:63], v[98:99], s[22:23], v[24:25] op_sel:[1,0,0] op_sel_hi:[0,0,1] neg_lo:[1,0,0] neg_hi:[1,0,0]
	v_pk_fma_f32 v[24:25], v[98:99], s[22:23], v[24:25] op_sel:[1,0,0] op_sel_hi:[0,0,1]
	v_pk_add_f32 v[60:61], v[130:131], v[60:61]
	v_mov_b32_e32 v64, v62
	v_mov_b32_e32 v65, v25
	;; [unrolled: 1-line block ×3, first 2 shown]
	v_pk_add_f32 v[70:71], v[64:65], v[60:61]
	v_pk_add_f32 v[64:65], v[24:25], v[90:91]
	v_pk_mul_f32 v[24:25], v[136:137], s[20:21] op_sel_hi:[1,0]
	v_pk_add_f32 v[76:77], v[112:113], v[76:77]
	v_pk_fma_f32 v[60:61], v[98:99], s[18:19], v[24:25] op_sel:[1,0,0] op_sel_hi:[0,0,1] neg_lo:[1,0,0] neg_hi:[1,0,0]
	v_pk_fma_f32 v[24:25], v[98:99], s[18:19], v[24:25] op_sel:[1,0,0] op_sel_hi:[0,0,1]
	v_mov_b32_e32 v62, v60
	v_mov_b32_e32 v63, v25
	;; [unrolled: 1-line block ×3, first 2 shown]
	v_pk_add_f32 v[72:73], v[62:63], v[76:77]
	v_pk_add_f32 v[74:75], v[24:25], v[100:101]
	v_add_u32_e32 v25, 0xc00, v248
	v_pk_add_f32 v[58:59], v[58:59], v[96:97]
	ds_write_b64 v248, v[10:11]
	ds_write2_b64 v248, v[56:57], v[58:59] offset0:91 offset1:182
	v_add_u32_e32 v24, 0x800, v248
	ds_write2_b64 v25, v[72:73], v[74:75] offset0:71 offset1:162
	v_add_u32_e32 v60, 0x1000, v248
	v_add_u32_e32 v25, 0x1800, v248
	ds_write2_b64 v24, v[68:69], v[70:71] offset0:17 offset1:108
	ds_write2_b64 v60, v[64:65], v[66:67] offset0:125 offset1:216
	;; [unrolled: 1-line block ×3, first 2 shown]
	s_waitcnt lgkmcnt(0)
	s_barrier
	s_and_saveexec_b64 s[0:1], s[4:5]
	s_cbranch_execz .LBB0_15
; %bb.14:
	v_mov_b32_e32 v251, 0
	v_lshl_add_u64 v[62:63], s[12:13], 0, v[250:251]
	v_add_co_u32_e32 v76, vcc, 0x1000, v62
	s_mov_b64 s[6:7], 0x1f48
	s_nop 0
	v_addc_co_u32_e32 v77, vcc, 0, v63, vcc
	global_load_dwordx2 v[76:77], v[76:77], off offset:3912
	s_movk_i32 s16, 0x3000
	v_lshl_add_u64 v[78:79], v[62:63], 0, s[6:7]
	v_add_co_u32_e32 v62, vcc, s16, v62
	global_load_dwordx2 v[106:107], v[78:79], off offset:616
	global_load_dwordx2 v[108:109], v[78:79], off offset:1232
	;; [unrolled: 1-line block ×4, first 2 shown]
	v_addc_co_u32_e32 v63, vcc, 0, v63, vcc
	global_load_dwordx2 v[114:115], v[78:79], off offset:3080
	global_load_dwordx2 v[116:117], v[62:63], off offset:32
	global_load_dwordx2 v[118:119], v[78:79], off offset:3696
	global_load_dwordx2 v[120:121], v[62:63], off offset:648
	global_load_dwordx2 v[122:123], v[62:63], off offset:1264
	global_load_dwordx2 v[124:125], v[62:63], off offset:1880
	global_load_dwordx2 v[126:127], v[62:63], off offset:2496
	global_load_dwordx2 v[128:129], v[62:63], off offset:3112
	ds_read_b64 v[62:63], v248
	v_add_u32_e32 v61, 0x400, v248
	v_add_u32_e32 v80, 0x1400, v248
	s_waitcnt vmcnt(12) lgkmcnt(0)
	v_mul_f32_e32 v78, v63, v77
	v_mul_f32_e32 v79, v62, v77
	v_fma_f32 v78, v62, v76, -v78
	v_fmac_f32_e32 v79, v63, v76
	ds_write_b64 v248, v[78:79]
	ds_read2_b64 v[76:79], v248 offset0:77 offset1:154
	ds_read2_b64 v[86:89], v61 offset0:103 offset1:180
	;; [unrolled: 1-line block ×6, first 2 shown]
	s_waitcnt vmcnt(11) lgkmcnt(5)
	v_mul_f32_e32 v62, v77, v107
	v_mul_f32_e32 v63, v76, v107
	s_waitcnt vmcnt(10)
	v_mul_f32_e32 v81, v79, v109
	v_mul_f32_e32 v107, v78, v109
	s_waitcnt vmcnt(9) lgkmcnt(4)
	v_mul_f32_e32 v82, v87, v111
	v_mul_f32_e32 v109, v86, v111
	s_waitcnt vmcnt(8)
	v_mul_f32_e32 v83, v89, v113
	v_mul_f32_e32 v111, v88, v113
	;; [unrolled: 6-line block ×3, first 2 shown]
	s_waitcnt lgkmcnt(2)
	v_mul_f32_e32 v132, v95, v117
	v_mul_f32_e32 v119, v94, v117
	s_waitcnt vmcnt(4)
	v_mul_f32_e32 v133, v97, v121
	v_mul_f32_e32 v117, v96, v121
	s_waitcnt vmcnt(3) lgkmcnt(1)
	v_mul_f32_e32 v134, v99, v123
	v_mul_f32_e32 v121, v98, v123
	s_waitcnt vmcnt(2)
	v_mul_f32_e32 v135, v101, v125
	v_mul_f32_e32 v123, v100, v125
	s_waitcnt vmcnt(1) lgkmcnt(0)
	v_mul_f32_e32 v136, v103, v127
	v_mul_f32_e32 v125, v102, v127
	s_waitcnt vmcnt(0)
	v_mul_f32_e32 v137, v105, v129
	v_mul_f32_e32 v127, v104, v129
	v_fma_f32 v62, v76, v106, -v62
	v_fmac_f32_e32 v63, v77, v106
	v_fma_f32 v106, v78, v108, -v81
	v_fmac_f32_e32 v107, v79, v108
	;; [unrolled: 2-line block ×12, first 2 shown]
	ds_write2_b64 v248, v[62:63], v[106:107] offset0:77 offset1:154
	ds_write2_b64 v61, v[108:109], v[110:111] offset0:103 offset1:180
	;; [unrolled: 1-line block ×6, first 2 shown]
.LBB0_15:
	s_or_b64 exec, exec, s[0:1]
	s_waitcnt lgkmcnt(0)
	s_barrier
	s_and_saveexec_b64 s[0:1], s[4:5]
	s_cbranch_execz .LBB0_17
; %bb.16:
	v_add_u32_e32 v24, 0x400, v248
	ds_read_b64 v[10:11], v248
	ds_read2_b64 v[56:59], v248 offset0:77 offset1:154
	ds_read2_b64 v[68:71], v24 offset0:103 offset1:180
	v_add_u32_e32 v24, 0x800, v248
	ds_read2_b64 v[72:75], v24 offset0:129 offset1:206
	v_add_u32_e32 v24, 0x1000, v248
	;; [unrolled: 2-line block ×4, first 2 shown]
	ds_read2_b64 v[48:51], v24 offset0:79 offset1:156
.LBB0_17:
	s_or_b64 exec, exec, s[0:1]
	s_waitcnt lgkmcnt(0)
	v_pk_add_f32 v[24:25], v[56:57], v[50:51] neg_lo:[0,1] neg_hi:[0,1]
	v_pk_add_f32 v[176:177], v[56:57], v[50:51]
	v_mov_b32_e32 v89, v24
	v_mov_b32_e32 v88, v176
	v_mov_b32_e32 v176, v25
	v_pk_add_f32 v[24:25], v[58:59], v[48:49] neg_lo:[0,1] neg_hi:[0,1]
	v_pk_add_f32 v[174:175], v[58:59], v[48:49]
	v_mov_b32_e32 v91, v24
	v_mov_b32_e32 v90, v174
	v_mov_b32_e32 v174, v25
	;; [unrolled: 5-line block ×4, first 2 shown]
	v_pk_add_f32 v[24:25], v[72:73], v[66:67] neg_lo:[0,1] neg_hi:[0,1]
	v_pk_add_f32 v[86:87], v[72:73], v[66:67]
	s_mov_b32 s25, 0x3f62ad3f
	s_mov_b32 s24, 0xbeedf032
	v_mov_b32_e32 v96, v86
	v_mov_b32_e32 v97, v24
	;; [unrolled: 1-line block ×3, first 2 shown]
	v_pk_add_f32 v[60:61], v[74:75], v[64:65] neg_lo:[0,1] neg_hi:[0,1]
	v_pk_add_f32 v[24:25], v[74:75], v[64:65]
	v_pk_mul_f32 v[98:99], v[176:177], s[24:25]
	s_mov_b32 s18, s25
	s_mov_b32 s19, s24
	;; [unrolled: 1-line block ×3, first 2 shown]
	v_mov_b32_e32 v100, v24
	v_mov_b32_e32 v101, v60
	v_mov_b32_e32 v24, v61
	v_pk_fma_f32 v[60:61], v[88:89], s[18:19], v[98:99] neg_lo:[0,0,1] neg_hi:[0,0,1]
	v_pk_fma_f32 v[102:103], v[88:89], s[18:19], v[98:99]
	s_mov_b32 s39, 0x3f116cb1
	s_mov_b32 s30, 0xbf6f5d39
	v_mov_b32_e32 v61, v103
	s_mov_b32 s0, s39
	s_mov_b32 s1, s38
	;; [unrolled: 1-line block ×3, first 2 shown]
	v_pk_mul_f32 v[106:107], v[176:177], s[38:39]
	v_pk_add_f32 v[208:209], v[10:11], v[60:61]
	s_mov_b32 s6, s31
	s_mov_b32 s7, s30
	;; [unrolled: 1-line block ×3, first 2 shown]
	v_pk_fma_f32 v[104:105], v[88:89], s[0:1], v[106:107]
	v_pk_fma_f32 v[60:61], v[88:89], s[0:1], v[106:107] neg_lo:[0,0,1] neg_hi:[0,0,1]
	v_pk_mul_f32 v[110:111], v[174:175], s[30:31]
	s_mov_b32 s40, 0xbf29c268
	s_mov_b32 s35, 0xbf788fa5
	v_mov_b32_e32 v61, v105
	v_pk_fma_f32 v[108:109], v[90:91], s[6:7], v[110:111]
	v_pk_fma_f32 v[62:63], v[90:91], s[6:7], v[110:111] neg_lo:[0,0,1] neg_hi:[0,0,1]
	s_mov_b32 s41, 0xbf3f9e67
	s_mov_b32 s20, s35
	;; [unrolled: 1-line block ×3, first 2 shown]
	v_pk_add_f32 v[60:61], v[10:11], v[60:61]
	v_mov_b32_e32 v63, v109
	v_pk_mul_f32 v[114:115], v[172:173], s[34:35]
	s_mov_b32 s42, 0xbf7e222b
	v_pk_add_f32 v[60:61], v[62:63], v[60:61]
	v_pk_fma_f32 v[112:113], v[92:93], s[20:21], v[114:115]
	v_pk_fma_f32 v[62:63], v[92:93], s[20:21], v[114:115] neg_lo:[0,0,1] neg_hi:[0,0,1]
	s_mov_b32 s48, 0x3f29c268
	s_mov_b32 s49, s41
	s_mov_b32 s43, 0x3df6dbef
	v_mov_b32_e32 v63, v113
	v_pk_mul_f32 v[116:117], v[170:171], s[48:49]
	s_mov_b32 s36, s41
	s_mov_b32 s37, s48
	v_pk_add_f32 v[60:61], v[62:63], v[60:61]
	v_pk_fma_f32 v[118:119], v[94:95], s[36:37], v[116:117]
	v_pk_fma_f32 v[62:63], v[94:95], s[36:37], v[116:117] neg_lo:[0,0,1] neg_hi:[0,0,1]
	s_mov_b32 s44, 0x3f7e222b
	s_mov_b32 s45, s43
	v_mov_b32_e32 v63, v119
	v_pk_mul_f32 v[120:121], v[86:87], s[44:45]
	s_mov_b32 s26, s43
	s_mov_b32 s27, s44
	v_pk_add_f32 v[60:61], v[62:63], v[60:61]
	v_pk_fma_f32 v[122:123], v[96:97], s[26:27], v[120:121]
	v_pk_fma_f32 v[62:63], v[96:97], s[26:27], v[120:121] neg_lo:[0,0,1] neg_hi:[0,0,1]
	s_mov_b32 s24, 0x3eedf032
	v_mov_b32_e32 v63, v123
	v_pk_mul_f32 v[124:125], v[24:25], s[24:25]
	s_mov_b32 s28, s25
	s_mov_b32 s29, s24
	v_pk_add_f32 v[60:61], v[62:63], v[60:61]
	v_pk_fma_f32 v[128:129], v[100:101], s[28:29], v[124:125]
	v_pk_fma_f32 v[62:63], v[100:101], s[28:29], v[124:125] neg_lo:[0,0,1] neg_hi:[0,0,1]
	s_mov_b32 s22, s43
	s_mov_b32 s23, s42
	v_mov_b32_e32 v63, v129
	v_pk_mul_f32 v[130:131], v[176:177], s[42:43]
	v_pk_add_f32 v[62:63], v[62:63], v[60:61]
	v_pk_fma_f32 v[126:127], v[88:89], s[22:23], v[130:131]
	v_pk_fma_f32 v[60:61], v[88:89], s[22:23], v[130:131] neg_lo:[0,0,1] neg_hi:[0,0,1]
	v_pk_mul_f32 v[134:135], v[174:175], s[34:35]
	v_mov_b32_e32 v61, v127
	v_pk_fma_f32 v[132:133], v[90:91], s[20:21], v[134:135]
	v_pk_fma_f32 v[76:77], v[90:91], s[20:21], v[134:135] neg_lo:[0,0,1] neg_hi:[0,0,1]
	s_mov_b32 s50, 0x3f6f5d39
	s_mov_b32 s51, s31
	v_pk_add_f32 v[60:61], v[10:11], v[60:61]
	v_mov_b32_e32 v77, v133
	v_pk_mul_f32 v[136:137], v[172:173], s[50:51]
	s_mov_b32 s46, s31
	s_mov_b32 s47, s50
	v_pk_add_f32 v[60:61], v[76:77], v[60:61]
	v_pk_fma_f32 v[138:139], v[92:93], s[46:47], v[136:137]
	v_pk_fma_f32 v[76:77], v[92:93], s[46:47], v[136:137] neg_lo:[0,0,1] neg_hi:[0,0,1]
	v_pk_mul_f32 v[146:147], v[170:171], s[24:25]
	v_mov_b32_e32 v77, v139
	v_pk_add_f32 v[60:61], v[76:77], v[60:61]
	v_pk_fma_f32 v[142:143], v[94:95], s[28:29], v[146:147]
	v_pk_fma_f32 v[76:77], v[94:95], s[28:29], v[146:147] neg_lo:[0,0,1] neg_hi:[0,0,1]
	v_pk_mul_f32 v[154:155], v[86:87], s[38:39]
	v_mov_b32_e32 v77, v143
	v_pk_add_f32 v[60:61], v[76:77], v[60:61]
	v_pk_fma_f32 v[150:151], v[96:97], s[0:1], v[154:155]
	v_pk_fma_f32 v[76:77], v[96:97], s[0:1], v[154:155] neg_lo:[0,0,1] neg_hi:[0,0,1]
	s_mov_b32 s16, s41
	s_mov_b32 s17, s40
	v_mov_b32_e32 v77, v151
	v_pk_mul_f32 v[162:163], v[24:25], s[40:41]
	v_pk_add_f32 v[60:61], v[76:77], v[60:61]
	v_pk_fma_f32 v[158:159], v[100:101], s[16:17], v[162:163]
	v_pk_fma_f32 v[76:77], v[100:101], s[16:17], v[162:163] neg_lo:[0,0,1] neg_hi:[0,0,1]
	v_pk_mul_f32 v[144:145], v[176:177], s[30:31]
	v_mov_b32_e32 v77, v159
	v_pk_add_f32 v[60:61], v[76:77], v[60:61]
	v_pk_fma_f32 v[76:77], v[88:89], s[6:7], v[144:145] neg_lo:[0,0,1] neg_hi:[0,0,1]
	v_pk_fma_f32 v[140:141], v[88:89], s[6:7], v[144:145]
	v_pk_mul_f32 v[152:153], v[174:175], s[48:49]
	v_mov_b32_e32 v77, v141
	v_pk_fma_f32 v[78:79], v[90:91], s[36:37], v[152:153] neg_lo:[0,0,1] neg_hi:[0,0,1]
	v_pk_fma_f32 v[148:149], v[90:91], s[36:37], v[152:153]
	v_pk_add_f32 v[76:77], v[10:11], v[76:77]
	v_mov_b32_e32 v79, v149
	v_pk_mul_f32 v[160:161], v[172:173], s[24:25]
	v_pk_add_f32 v[76:77], v[78:79], v[76:77]
	v_pk_fma_f32 v[78:79], v[92:93], s[28:29], v[160:161] neg_lo:[0,0,1] neg_hi:[0,0,1]
	v_pk_fma_f32 v[156:157], v[92:93], s[28:29], v[160:161]
	v_pk_mul_f32 v[166:167], v[170:171], s[42:43]
	v_mov_b32_e32 v79, v157
	v_pk_add_f32 v[76:77], v[78:79], v[76:77]
	v_pk_fma_f32 v[78:79], v[94:95], s[22:23], v[166:167] neg_lo:[0,0,1] neg_hi:[0,0,1]
	v_pk_fma_f32 v[164:165], v[94:95], s[22:23], v[166:167]
	s_mov_b32 s52, 0x3e750f2a
	s_mov_b32 s53, s35
	v_mov_b32_e32 v79, v165
	v_pk_mul_f32 v[168:169], v[86:87], s[52:53]
	s_mov_b32 s48, s35
	s_mov_b32 s49, s52
	v_pk_add_f32 v[76:77], v[78:79], v[76:77]
	v_pk_fma_f32 v[78:79], v[96:97], s[48:49], v[168:169] neg_lo:[0,0,1] neg_hi:[0,0,1]
	v_pk_fma_f32 v[178:179], v[96:97], s[48:49], v[168:169]
	s_mov_b32 s54, 0x3f52af12
	s_mov_b32 s55, s39
	v_mov_b32_e32 v79, v179
	v_pk_mul_f32 v[180:181], v[24:25], s[54:55]
	s_mov_b32 s50, s39
	s_mov_b32 s51, s54
	v_pk_add_f32 v[76:77], v[78:79], v[76:77]
	v_pk_fma_f32 v[78:79], v[100:101], s[50:51], v[180:181] neg_lo:[0,0,1] neg_hi:[0,0,1]
	v_pk_fma_f32 v[184:185], v[100:101], s[50:51], v[180:181]
	v_pk_mul_f32 v[186:187], v[176:177], s[40:41]
	v_mov_b32_e32 v79, v185
	v_pk_add_f32 v[78:79], v[78:79], v[76:77]
	v_pk_fma_f32 v[76:77], v[88:89], s[16:17], v[186:187] neg_lo:[0,0,1] neg_hi:[0,0,1]
	v_pk_fma_f32 v[182:183], v[88:89], s[16:17], v[186:187]
	v_pk_mul_f32 v[190:191], v[174:175], s[44:45]
	v_mov_b32_e32 v77, v183
	v_pk_fma_f32 v[192:193], v[90:91], s[26:27], v[190:191] neg_lo:[0,0,1] neg_hi:[0,0,1]
	v_pk_fma_f32 v[188:189], v[90:91], s[26:27], v[190:191]
	v_pk_add_f32 v[76:77], v[10:11], v[76:77]
	v_mov_b32_e32 v193, v189
	v_pk_mul_f32 v[194:195], v[172:173], s[38:39]
	v_pk_add_f32 v[76:77], v[192:193], v[76:77]
	v_pk_fma_f32 v[196:197], v[92:93], s[0:1], v[194:195] neg_lo:[0,0,1] neg_hi:[0,0,1]
	v_pk_fma_f32 v[192:193], v[92:93], s[0:1], v[194:195]
	v_pk_mul_f32 v[198:199], v[170:171], s[52:53]
	v_mov_b32_e32 v197, v193
	v_pk_add_f32 v[76:77], v[196:197], v[76:77]
	v_pk_fma_f32 v[200:201], v[94:95], s[48:49], v[198:199] neg_lo:[0,0,1] neg_hi:[0,0,1]
	v_pk_fma_f32 v[196:197], v[94:95], s[48:49], v[198:199]
	v_pk_mul_f32 v[202:203], v[86:87], s[24:25]
	v_mov_b32_e32 v201, v197
	;; [unrolled: 5-line block ×8, first 2 shown]
	v_pk_add_f32 v[252:253], v[210:211], v[208:209]
	v_pk_mul_f32 v[208:209], v[176:177], s[34:35]
	v_pk_fma_f32 v[240:241], v[100:101], s[26:27], v[222:223] neg_lo:[0,0,1] neg_hi:[0,0,1]
	v_pk_fma_f32 v[210:211], v[88:89], s[20:21], v[208:209] neg_lo:[0,0,1] neg_hi:[0,0,1]
	v_pk_fma_f32 v[176:177], v[88:89], s[20:21], v[208:209]
	v_pk_mul_f32 v[242:243], v[24:25], s[34:35]
	v_mov_b32_e32 v211, v177
	v_pk_add_f32 v[212:213], v[10:11], v[210:211]
	v_pk_mul_f32 v[210:211], v[174:175], s[24:25]
	v_pk_fma_f32 v[24:25], v[100:101], s[20:21], v[242:243] neg_lo:[0,0,1] neg_hi:[0,0,1]
	v_pk_fma_f32 v[214:215], v[90:91], s[28:29], v[210:211] neg_lo:[0,0,1] neg_hi:[0,0,1]
	v_pk_fma_f32 v[174:175], v[90:91], s[28:29], v[210:211]
	s_nop 0
	v_mov_b32_e32 v215, v175
	v_pk_add_f32 v[214:215], v[214:215], v[212:213]
	v_pk_mul_f32 v[212:213], v[172:173], s[40:41]
	s_barrier
	v_pk_fma_f32 v[216:217], v[92:93], s[16:17], v[212:213] neg_lo:[0,0,1] neg_hi:[0,0,1]
	v_pk_fma_f32 v[172:173], v[92:93], s[16:17], v[212:213]
	s_nop 0
	v_mov_b32_e32 v217, v173
	v_pk_add_f32 v[216:217], v[216:217], v[214:215]
	v_pk_mul_f32 v[214:215], v[170:171], s[54:55]
	s_nop 0
	v_pk_fma_f32 v[218:219], v[94:95], s[50:51], v[214:215] neg_lo:[0,0,1] neg_hi:[0,0,1]
	v_pk_fma_f32 v[170:171], v[94:95], s[50:51], v[214:215]
	s_nop 0
	v_mov_b32_e32 v219, v171
	v_pk_add_f32 v[220:221], v[218:219], v[216:217]
	v_pk_mul_f32 v[218:219], v[86:87], s[30:31]
	s_nop 0
	v_pk_fma_f32 v[86:87], v[96:97], s[6:7], v[218:219] neg_lo:[0,0,1] neg_hi:[0,0,1]
	v_pk_fma_f32 v[216:217], v[96:97], s[6:7], v[218:219]
	s_nop 0
	v_mov_b32_e32 v87, v217
	v_pk_add_f32 v[86:87], v[86:87], v[220:221]
	v_pk_fma_f32 v[220:221], v[100:101], s[26:27], v[222:223]
	s_nop 0
	v_mov_b32_e32 v241, v221
	v_pk_add_f32 v[80:81], v[240:241], v[86:87]
	v_pk_fma_f32 v[240:241], v[100:101], s[20:21], v[242:243]
	v_accvgpr_write_b32 a4, v80
	v_mov_b32_e32 v25, v241
	v_accvgpr_write_b32 a5, v81
	v_pk_add_f32 v[24:25], v[24:25], v[252:253]
	s_and_saveexec_b64 s[24:25], s[4:5]
	s_cbranch_execz .LBB0_19
; %bb.18:
	v_pk_add_f32 v[56:57], v[56:57], v[10:11]
	v_pk_mul_f32 v[252:253], v[88:89], s[18:19]
	v_pk_add_f32 v[56:57], v[58:59], v[56:57]
	v_pk_mul_f32 v[86:87], v[88:89], s[0:1]
	v_pk_add_f32 v[56:57], v[68:69], v[56:57]
	v_mov_b32_e32 v109, v254
	v_pk_add_f32 v[56:57], v[70:71], v[56:57]
	v_mov_b32_e32 v113, v255
	v_pk_add_f32 v[56:57], v[72:73], v[56:57]
	v_pk_mul_f32 v[254:255], v[90:91], s[0:1]
	v_pk_add_f32 v[56:57], v[74:75], v[56:57]
	v_accvgpr_write_b32 a36, v86
	v_pk_add_f32 v[56:57], v[64:65], v[56:57]
	v_accvgpr_read_b32 v103, a3
	v_pk_add_f32 v[56:57], v[66:67], v[56:57]
	v_accvgpr_write_b32 a0, v246
	v_pk_add_f32 v[52:53], v[52:53], v[56:57]
	v_mov_b32_e32 v105, v247
	v_pk_add_f32 v[52:53], v[54:55], v[52:53]
	v_pk_mul_f32 v[246:247], v[92:93], s[22:23]
	v_pk_add_f32 v[48:49], v[48:49], v[52:53]
	v_accvgpr_write_b32 a37, v87
	v_pk_add_f32 v[48:49], v[50:51], v[48:49]
	v_pk_add_f32 v[50:51], v[98:99], v[252:253] neg_lo:[0,1] neg_hi:[0,1]
	v_pk_mul_f32 v[86:87], v[90:91], s[6:7]
	v_accvgpr_write_b32 a1, v244
	v_lshl_add_u32 v244, v113, 3, v103
	v_mov_b32_e32 v103, v51
	v_pk_add_f32 v[52:53], v[226:227], v[254:255] neg_lo:[0,1] neg_hi:[0,1]
	v_pk_mul_f32 v[80:81], v[94:95], s[6:7]
	v_accvgpr_write_b32 a34, v86
	v_pk_add_f32 v[50:51], v[10:11], v[102:103]
	v_mov_b32_e32 v225, v53
	v_pk_add_f32 v[52:53], v[230:231], v[246:247] neg_lo:[0,1] neg_hi:[0,1]
	v_accvgpr_write_b32 a2, v250
	v_pk_mul_f32 v[250:251], v[96:97], s[16:17]
	v_accvgpr_write_b32 a35, v87
	v_pk_mul_f32 v[86:87], v[92:93], s[20:21]
	v_pk_add_f32 v[50:51], v[224:225], v[50:51]
	v_mov_b32_e32 v229, v53
	v_pk_add_f32 v[52:53], v[234:235], v[80:81] neg_lo:[0,1] neg_hi:[0,1]
	v_pk_mul_f32 v[82:83], v[100:101], s[20:21]
	v_accvgpr_write_b32 a32, v86
	v_pk_add_f32 v[50:51], v[228:229], v[50:51]
	v_mov_b32_e32 v233, v53
	v_pk_add_f32 v[52:53], v[238:239], v[250:251] neg_lo:[0,1] neg_hi:[0,1]
	v_accvgpr_write_b32 a33, v87
	v_pk_mul_f32 v[86:87], v[94:95], s[36:37]
	v_pk_add_f32 v[50:51], v[232:233], v[50:51]
	v_mov_b32_e32 v237, v53
	v_pk_add_f32 v[52:53], v[242:243], v[82:83] neg_lo:[0,1] neg_hi:[0,1]
	v_accvgpr_write_b32 a30, v86
	v_pk_add_f32 v[50:51], v[236:237], v[50:51]
	v_mov_b32_e32 v241, v53
	v_accvgpr_write_b32 a31, v87
	v_pk_mul_f32 v[86:87], v[96:97], s[26:27]
	v_pk_add_f32 v[50:51], v[240:241], v[50:51]
	v_accvgpr_write_b32 a28, v86
	ds_write2_b64 v244, v[48:49], v[50:51] offset1:1
	v_accvgpr_read_b32 v51, a35
	v_accvgpr_write_b32 a29, v87
	v_pk_mul_f32 v[86:87], v[100:101], s[28:29]
	v_accvgpr_read_b32 v50, a34
	v_accvgpr_write_b32 a26, v86
	v_pk_add_f32 v[50:51], v[110:111], v[50:51] neg_lo:[0,1] neg_hi:[0,1]
	v_accvgpr_write_b32 a27, v87
	v_pk_mul_f32 v[86:87], v[88:89], s[22:23]
	v_mov_b32_e32 v254, v109
	v_mov_b32_e32 v109, v51
	v_accvgpr_read_b32 v51, a33
	v_accvgpr_write_b32 a24, v86
	v_accvgpr_read_b32 v50, a32
	v_accvgpr_write_b32 a25, v87
	v_pk_mul_f32 v[86:87], v[90:91], s[20:21]
	v_pk_add_f32 v[50:51], v[114:115], v[50:51] neg_lo:[0,1] neg_hi:[0,1]
	v_accvgpr_write_b32 a22, v86
	v_mov_b32_e32 v113, v51
	v_accvgpr_read_b32 v51, a31
	v_accvgpr_write_b32 a23, v87
	v_accvgpr_read_b32 v50, a30
	v_pk_mul_f32 v[86:87], v[92:93], s[46:47]
	v_pk_add_f32 v[50:51], v[116:117], v[50:51] neg_lo:[0,1] neg_hi:[0,1]
	v_accvgpr_read_b32 v53, a23
	v_accvgpr_write_b32 a20, v86
	v_mov_b32_e32 v119, v51
	v_accvgpr_read_b32 v51, a29
	v_accvgpr_read_b32 v52, a22
	v_accvgpr_write_b32 a21, v87
	v_accvgpr_read_b32 v50, a28
	v_pk_add_f32 v[52:53], v[134:135], v[52:53] neg_lo:[0,1] neg_hi:[0,1]
	v_pk_mul_f32 v[86:87], v[94:95], s[28:29]
	v_pk_add_f32 v[50:51], v[120:121], v[50:51] neg_lo:[0,1] neg_hi:[0,1]
	v_mov_b32_e32 v133, v53
	v_accvgpr_read_b32 v53, a21
	v_accvgpr_write_b32 a18, v86
	v_mov_b32_e32 v123, v51
	v_accvgpr_read_b32 v51, a27
	v_accvgpr_read_b32 v52, a20
	v_accvgpr_write_b32 a19, v87
	v_accvgpr_read_b32 v50, a26
	v_pk_add_f32 v[52:53], v[136:137], v[52:53] neg_lo:[0,1] neg_hi:[0,1]
	v_pk_mul_f32 v[86:87], v[96:97], s[0:1]
	v_pk_add_f32 v[50:51], v[124:125], v[50:51] neg_lo:[0,1] neg_hi:[0,1]
	v_mov_b32_e32 v139, v53
	v_accvgpr_read_b32 v53, a19
	v_accvgpr_write_b32 a16, v86
	v_accvgpr_read_b32 v49, a37
	v_mov_b32_e32 v129, v51
	v_accvgpr_read_b32 v51, a25
	v_accvgpr_read_b32 v52, a18
	v_accvgpr_write_b32 a17, v87
	v_accvgpr_read_b32 v48, a36
	v_accvgpr_read_b32 v50, a24
	v_pk_add_f32 v[52:53], v[146:147], v[52:53] neg_lo:[0,1] neg_hi:[0,1]
	v_pk_mul_f32 v[86:87], v[100:101], s[16:17]
	v_pk_add_f32 v[48:49], v[106:107], v[48:49] neg_lo:[0,1] neg_hi:[0,1]
	v_pk_add_f32 v[50:51], v[130:131], v[50:51] neg_lo:[0,1] neg_hi:[0,1]
	v_mov_b32_e32 v143, v53
	v_accvgpr_read_b32 v53, a17
	v_accvgpr_write_b32 a14, v86
	v_mov_b32_e32 v247, v105
	v_mov_b32_e32 v105, v49
	;; [unrolled: 1-line block ×3, first 2 shown]
	v_accvgpr_read_b32 v52, a16
	v_accvgpr_write_b32 a15, v87
	v_pk_add_f32 v[48:49], v[10:11], v[104:105]
	v_pk_add_f32 v[50:51], v[10:11], v[126:127]
	v_pk_add_f32 v[52:53], v[154:155], v[52:53] neg_lo:[0,1] neg_hi:[0,1]
	v_pk_mul_f32 v[86:87], v[88:89], s[6:7]
	v_pk_add_f32 v[48:49], v[108:109], v[48:49]
	v_pk_add_f32 v[50:51], v[132:133], v[50:51]
	v_mov_b32_e32 v151, v53
	v_accvgpr_read_b32 v53, a15
	v_accvgpr_write_b32 a12, v86
	v_pk_add_f32 v[48:49], v[112:113], v[48:49]
	v_pk_add_f32 v[50:51], v[138:139], v[50:51]
	v_accvgpr_read_b32 v52, a14
	v_accvgpr_write_b32 a13, v87
	v_pk_mul_f32 v[86:87], v[90:91], s[36:37]
	v_pk_add_f32 v[48:49], v[118:119], v[48:49]
	v_pk_add_f32 v[50:51], v[142:143], v[50:51]
	v_pk_add_f32 v[52:53], v[162:163], v[52:53] neg_lo:[0,1] neg_hi:[0,1]
	v_accvgpr_write_b32 a10, v86
	v_pk_add_f32 v[48:49], v[122:123], v[48:49]
	v_pk_add_f32 v[50:51], v[150:151], v[50:51]
	v_mov_b32_e32 v159, v53
	v_accvgpr_write_b32 a11, v87
	v_pk_add_f32 v[48:49], v[128:129], v[48:49]
	v_pk_add_f32 v[50:51], v[158:159], v[50:51]
	v_pk_mul_f32 v[86:87], v[92:93], s[28:29]
	ds_write2_b64 v244, v[48:49], v[50:51] offset0:2 offset1:3
	v_accvgpr_read_b32 v51, a11
	v_accvgpr_write_b32 a8, v86
	v_accvgpr_read_b32 v50, a10
	v_accvgpr_write_b32 a9, v87
	v_pk_add_f32 v[50:51], v[152:153], v[50:51] neg_lo:[0,1] neg_hi:[0,1]
	v_pk_mul_f32 v[86:87], v[94:95], s[22:23]
	v_mov_b32_e32 v149, v51
	v_accvgpr_read_b32 v51, a9
	v_accvgpr_write_b32 a6, v86
	v_accvgpr_read_b32 v50, a8
	v_accvgpr_write_b32 a7, v87
	v_pk_add_f32 v[50:51], v[160:161], v[50:51] neg_lo:[0,1] neg_hi:[0,1]
	v_pk_mul_f32 v[58:59], v[96:97], s[48:49]
	v_mov_b32_e32 v157, v51
	v_accvgpr_read_b32 v51, a7
	v_accvgpr_read_b32 v50, a6
	v_pk_add_f32 v[50:51], v[166:167], v[50:51] neg_lo:[0,1] neg_hi:[0,1]
	v_pk_mul_f32 v[86:87], v[100:101], s[50:51]
	v_accvgpr_read_b32 v49, a13
	v_mov_b32_e32 v165, v51
	v_pk_add_f32 v[50:51], v[168:169], v[58:59] neg_lo:[0,1] neg_hi:[0,1]
	v_pk_mul_f32 v[68:69], v[88:89], s[16:17]
	v_accvgpr_read_b32 v48, a12
	v_mov_b32_e32 v179, v51
	v_pk_add_f32 v[50:51], v[180:181], v[86:87] neg_lo:[0,1] neg_hi:[0,1]
	v_pk_mul_f32 v[70:71], v[90:91], s[26:27]
	v_pk_add_f32 v[48:49], v[144:145], v[48:49] neg_lo:[0,1] neg_hi:[0,1]
	v_mov_b32_e32 v185, v51
	v_pk_add_f32 v[50:51], v[186:187], v[68:69] neg_lo:[0,1] neg_hi:[0,1]
	v_pk_mul_f32 v[72:73], v[92:93], s[0:1]
	v_mov_b32_e32 v141, v49
	v_mov_b32_e32 v183, v51
	v_pk_add_f32 v[52:53], v[190:191], v[70:71] neg_lo:[0,1] neg_hi:[0,1]
	v_pk_mul_f32 v[74:75], v[94:95], s[48:49]
	v_pk_add_f32 v[48:49], v[10:11], v[140:141]
	v_pk_add_f32 v[50:51], v[10:11], v[182:183]
	v_mov_b32_e32 v189, v53
	v_pk_add_f32 v[52:53], v[194:195], v[72:73] neg_lo:[0,1] neg_hi:[0,1]
	v_pk_mul_f32 v[64:65], v[96:97], s[28:29]
	v_pk_add_f32 v[48:49], v[148:149], v[48:49]
	v_pk_add_f32 v[50:51], v[188:189], v[50:51]
	;; [unrolled: 5-line block ×3, first 2 shown]
	v_mov_b32_e32 v197, v53
	v_pk_add_f32 v[52:53], v[202:203], v[64:65] neg_lo:[0,1] neg_hi:[0,1]
	v_pk_add_f32 v[48:49], v[164:165], v[48:49]
	v_pk_add_f32 v[50:51], v[196:197], v[50:51]
	v_mov_b32_e32 v201, v53
	v_pk_add_f32 v[52:53], v[206:207], v[66:67] neg_lo:[0,1] neg_hi:[0,1]
	v_pk_add_f32 v[48:49], v[178:179], v[48:49]
	v_pk_add_f32 v[50:51], v[200:201], v[50:51]
	v_mov_b32_e32 v205, v53
	v_pk_mul_f32 v[88:89], v[88:89], s[20:21]
	v_pk_add_f32 v[48:49], v[184:185], v[48:49]
	v_pk_add_f32 v[50:51], v[204:205], v[50:51]
	v_pk_mul_f32 v[90:91], v[90:91], s[28:29]
	ds_write2_b64 v244, v[48:49], v[50:51] offset0:4 offset1:5
	v_pk_add_f32 v[48:49], v[208:209], v[88:89] neg_lo:[0,1] neg_hi:[0,1]
	v_pk_mul_f32 v[92:93], v[92:93], s[16:17]
	v_mov_b32_e32 v177, v49
	v_pk_add_f32 v[48:49], v[210:211], v[90:91] neg_lo:[0,1] neg_hi:[0,1]
	v_pk_mul_f32 v[94:95], v[94:95], s[50:51]
	v_pk_add_f32 v[10:11], v[10:11], v[176:177]
	v_mov_b32_e32 v175, v49
	v_pk_add_f32 v[48:49], v[212:213], v[92:93] neg_lo:[0,1] neg_hi:[0,1]
	v_pk_mul_f32 v[96:97], v[96:97], s[6:7]
	v_pk_add_f32 v[10:11], v[174:175], v[10:11]
	;; [unrolled: 4-line block ×3, first 2 shown]
	v_mov_b32_e32 v171, v49
	v_pk_add_f32 v[48:49], v[218:219], v[96:97] neg_lo:[0,1] neg_hi:[0,1]
	v_pk_add_f32 v[10:11], v[170:171], v[10:11]
	v_mov_b32_e32 v217, v49
	v_pk_add_f32 v[48:49], v[222:223], v[100:101] neg_lo:[0,1] neg_hi:[0,1]
	v_pk_add_f32 v[10:11], v[216:217], v[10:11]
	v_mov_b32_e32 v221, v49
	v_accvgpr_read_b32 v49, a5
	v_pk_add_f32 v[10:11], v[220:221], v[10:11]
	v_accvgpr_read_b32 v48, a4
	v_accvgpr_read_b32 v246, a0
	;; [unrolled: 1-line block ×3, first 2 shown]
	ds_write2_b64 v244, v[10:11], v[48:49] offset0:6 offset1:7
	ds_write2_b64 v244, v[76:77], v[78:79] offset0:8 offset1:9
	;; [unrolled: 1-line block ×3, first 2 shown]
	ds_write_b64 v244, v[24:25] offset:96
	v_accvgpr_read_b32 v244, a1
.LBB0_19:
	s_or_b64 exec, exec, s[24:25]
	v_add_u32_e32 v10, 0x800, v245
	s_waitcnt lgkmcnt(0)
	s_barrier
	ds_read2_b64 v[56:59], v10 offset0:30 offset1:173
	v_add_u32_e32 v10, 0x1000, v245
	ds_read2_b64 v[48:51], v245 offset1:143
	ds_read2_b64 v[52:55], v10 offset0:60 offset1:203
	ds_read_b64 v[90:91], v245 offset:6864
	s_and_saveexec_b64 s[0:1], s[2:3]
	s_cbranch_execz .LBB0_21
; %bb.20:
	v_add_u32_e32 v11, 0x400, v245
	ds_read_b64 a[4:5], v245 offset:728
	ds_read2_b64 v[76:79], v11 offset0:106 offset1:249
	ds_read2_b64 v[60:63], v10 offset0:8 offset1:151
	v_add_u32_e32 v10, 0x1800, v245
	ds_read2_b64 v[24:27], v10 offset0:38 offset1:181
.LBB0_21:
	s_or_b64 exec, exec, s[0:1]
	s_waitcnt lgkmcnt(3)
	v_pk_mul_f32 v[98:99], v[20:21], v[58:59] op_sel:[0,1] op_sel_hi:[1,0]
	s_waitcnt lgkmcnt(2)
	v_pk_mul_f32 v[80:81], v[16:17], v[50:51] op_sel_hi:[1,0]
	v_mov_b32_e32 v82, v51
	v_mov_b32_e32 v98, v99
	s_waitcnt lgkmcnt(1)
	v_pk_mul_f32 v[100:101], v[22:23], v[52:53] op_sel:[0,1] op_sel_hi:[1,0]
	v_pk_mul_f32 v[86:87], v[18:19], v[56:57] op_sel_hi:[1,0]
	v_mov_b32_e32 v92, v57
	v_pk_mul_f32 v[94:95], v[20:21], v[58:59]
	v_mov_b32_e32 v96, v21
	v_pk_fma_f32 v[20:21], v[20:21], v[58:59], v[98:99] op_sel:[0,1,0] op_sel_hi:[1,0,1] neg_lo:[0,0,1] neg_hi:[0,0,1]
	v_mov_b32_e32 v98, v23
	v_mov_b32_e32 v100, v101
	v_pk_fma_f32 v[82:83], v[16:17], v[82:83], v[80:81] op_sel:[0,0,1] op_sel_hi:[1,1,0] neg_lo:[0,0,1] neg_hi:[0,0,1]
	v_pk_fma_f32 v[16:17], v[16:17], v[50:51], v[80:81] op_sel:[0,1,1] op_sel_hi:[1,1,0]
	v_pk_mul_f32 v[96:97], v[96:97], v[58:59] op_sel:[0,1] op_sel_hi:[1,0]
	v_pk_mul_f32 v[58:59], v[22:23], v[52:53]
	v_pk_mul_f32 v[98:99], v[98:99], v[52:53] op_sel:[0,1] op_sel_hi:[1,0]
	v_pk_fma_f32 v[22:23], v[22:23], v[52:53], v[100:101] op_sel:[0,1,0] op_sel_hi:[1,0,1] neg_lo:[0,0,1] neg_hi:[0,0,1]
	v_pk_mul_f32 v[52:53], v[12:13], v[54:55] op_sel_hi:[1,0]
	v_mov_b32_e32 v100, v55
	v_mov_b32_e32 v83, v17
	v_pk_fma_f32 v[16:17], v[18:19], v[92:93], v[86:87] op_sel:[0,0,1] op_sel_hi:[1,1,0] neg_lo:[0,0,1] neg_hi:[0,0,1]
	v_pk_fma_f32 v[18:19], v[18:19], v[56:57], v[86:87] op_sel:[0,1,1] op_sel_hi:[1,1,0]
	s_waitcnt lgkmcnt(0)
	v_pk_mul_f32 v[102:103], v[14:15], v[90:91] op_sel_hi:[1,0]
	v_mov_b32_e32 v104, v91
	v_mov_b32_e32 v17, v19
	v_pk_fma_f32 v[18:19], v[12:13], v[100:101], v[52:53] op_sel:[0,0,1] op_sel_hi:[1,1,0] neg_lo:[0,0,1] neg_hi:[0,0,1]
	v_pk_fma_f32 v[12:13], v[12:13], v[54:55], v[52:53] op_sel:[0,1,1] op_sel_hi:[1,1,0]
	v_mov_b32_e32 v59, v82
	v_mov_b32_e32 v19, v13
	v_pk_fma_f32 v[12:13], v[14:15], v[104:105], v[102:103] op_sel:[0,0,1] op_sel_hi:[1,1,0] neg_lo:[0,0,1] neg_hi:[0,0,1]
	v_pk_fma_f32 v[14:15], v[14:15], v[90:91], v[102:103] op_sel:[0,1,1] op_sel_hi:[1,1,0]
	v_mov_b32_e32 v99, v12
	v_mov_b32_e32 v13, v15
	;; [unrolled: 1-line block ×4, first 2 shown]
	v_pk_add_f32 v[14:15], v[82:83], v[12:13]
	v_pk_add_f32 v[50:51], v[82:83], v[12:13] neg_lo:[0,1] neg_hi:[0,1]
	v_pk_add_f32 v[52:53], v[16:17], v[18:19]
	v_pk_add_f32 v[54:55], v[16:17], v[18:19] neg_lo:[0,1] neg_hi:[0,1]
	v_pk_add_f32 v[12:13], v[58:59], v[98:99]
	v_pk_add_f32 v[16:17], v[94:95], v[96:97]
	v_mov_b32_e32 v23, v12
	v_mov_b32_e32 v21, v16
	v_pk_add_f32 v[18:19], v[22:23], v[20:21] neg_lo:[0,1] neg_hi:[0,1]
	v_mov_b32_e32 v82, v53
	v_mov_b32_e32 v83, v20
	;; [unrolled: 1-line block ×4, first 2 shown]
	v_pk_add_f32 v[20:21], v[82:83], v[20:21]
	v_pk_add_f32 v[22:23], v[16:17], v[12:13]
	v_mov_b32_e32 v56, v18
	v_mov_b32_e32 v57, v51
	;; [unrolled: 1-line block ×4, first 2 shown]
	s_mov_b32 s6, 0x3f08b237
	v_mov_b32_e32 v12, v22
	v_mov_b32_e32 v83, v21
	s_mov_b32 s24, 0x3d64c772
	v_pk_add_f32 v[56:57], v[56:57], v[58:59] neg_lo:[0,1] neg_hi:[0,1]
	s_mov_b32 s7, 0xbeae86e6
	v_mov_b32_e32 v58, v50
	v_mov_b32_e32 v80, v18
	v_mov_b32_e32 v81, v55
	v_pk_add_f32 v[82:83], v[12:13], v[82:83] neg_lo:[0,1] neg_hi:[0,1]
	v_mov_b32_e32 v86, v15
	v_mov_b32_e32 v87, v21
	;; [unrolled: 1-line block ×3, first 2 shown]
	v_pk_add_f32 v[20:21], v[20:21], v[22:23]
	s_mov_b32 s25, 0x3f4a47b2
	v_pk_mul_f32 v[56:57], v[56:57], s[6:7]
	v_pk_add_f32 v[58:59], v[58:59], v[80:81] neg_lo:[0,1] neg_hi:[0,1]
	s_mov_b32 s20, s7
	s_mov_b32 s21, s6
	v_pk_add_f32 v[18:19], v[18:19], v[54:55]
	v_pk_add_f32 v[86:87], v[86:87], v[16:17] neg_lo:[0,1] neg_hi:[0,1]
	v_pk_add_f32 v[22:23], v[48:49], v[20:21]
	s_mov_b32 s22, 0xbf955555
	v_pk_mul_f32 v[48:49], v[82:83], s[24:25]
	s_mov_b32 s26, s25
	s_mov_b32 s27, s24
	v_pk_mul_f32 v[80:81], v[58:59], s[20:21]
	v_pk_add_f32 v[18:19], v[18:19], v[50:51]
	s_mov_b32 s0, 0xbee1c552
	v_pk_mul_f32 v[82:83], v[86:87], s[26:27]
	v_pk_fma_f32 v[20:21], v[20:21], s[22:23], v[22:23] op_sel_hi:[1,0,1]
	v_pk_fma_f32 v[86:87], v[86:87], s[26:27], v[48:49]
	v_pk_fma_f32 v[58:59], v[58:59], s[20:21], v[56:57]
	v_pk_add_f32 v[86:87], v[86:87], v[20:21]
	v_pk_fma_f32 v[58:59], v[18:19], s[0:1], v[58:59] op_sel_hi:[1,0,1]
	v_mov_b32_e32 v16, v53
	v_pk_add_f32 v[90:91], v[86:87], v[58:59]
	v_pk_add_f32 v[58:59], v[86:87], v[58:59] neg_lo:[0,1] neg_hi:[0,1]
	v_mov_b32_e32 v86, v90
	v_mov_b32_e32 v87, v59
	;; [unrolled: 1-line block ×3, first 2 shown]
	s_barrier
	ds_write2_b64 v249, v[22:23], v[86:87] offset1:13
	v_pk_add_f32 v[22:23], v[54:55], v[50:51] neg_lo:[0,1] neg_hi:[0,1]
	s_mov_b32 s16, 0xbf5ff5aa
	v_pk_add_f32 v[12:13], v[16:17], v[12:13] neg_lo:[0,1] neg_hi:[0,1]
	s_mov_b32 s18, 0x3f3bfb3b
	v_mov_b32_e32 v14, v82
	v_mov_b32_e32 v15, v49
	;; [unrolled: 1-line block ×6, first 2 shown]
	v_pk_fma_f32 v[14:15], v[12:13], s[18:19], v[14:15] op_sel_hi:[1,0,1] neg_lo:[1,0,1] neg_hi:[1,0,1]
	v_pk_fma_f32 v[16:17], v[22:23], s[16:17], v[16:17] op_sel_hi:[1,0,1] neg_lo:[1,0,1] neg_hi:[1,0,1]
	;; [unrolled: 1-line block ×4, first 2 shown]
	v_pk_add_f32 v[14:15], v[14:15], v[20:21]
	v_pk_fma_f32 v[16:17], v[18:19], s[0:1], v[16:17] op_sel_hi:[1,0,1]
	v_pk_add_f32 v[12:13], v[12:13], v[20:21]
	v_pk_fma_f32 v[18:19], v[18:19], s[0:1], v[22:23] op_sel_hi:[1,0,1]
	v_pk_add_f32 v[50:51], v[14:15], v[16:17]
	v_pk_add_f32 v[14:15], v[14:15], v[16:17] neg_lo:[0,1] neg_hi:[0,1]
	v_pk_add_f32 v[20:21], v[12:13], v[18:19] neg_lo:[0,1] neg_hi:[0,1]
	v_pk_add_f32 v[12:13], v[12:13], v[18:19]
	v_mov_b32_e32 v70, v46
	v_mov_b32_e32 v71, v46
	;; [unrolled: 1-line block ×31, first 2 shown]
	ds_write2_b64 v249, v[16:17], v[18:19] offset0:26 offset1:39
	ds_write2_b64 v249, v[12:13], v[14:15] offset0:52 offset1:65
	ds_write_b64 v249, v[58:59] offset:624
	s_and_saveexec_b64 s[28:29], s[2:3]
	s_cbranch_execz .LBB0_23
; %bb.22:
	v_pk_mul_f32 v[18:19], v[6:7], v[26:27] op_sel_hi:[1,0]
	v_mov_b32_e32 v20, v27
	v_mov_b32_e32 v14, v9
	;; [unrolled: 1-line block ×3, first 2 shown]
	v_pk_mul_f32 v[16:17], v[0:1], v[76:77] op_sel_hi:[1,0]
	v_pk_fma_f32 v[54:55], v[6:7], v[20:21], v[18:19] op_sel:[0,0,1] op_sel_hi:[1,0,0] neg_lo:[0,0,1] neg_hi:[0,0,1]
	v_pk_fma_f32 v[6:7], v[6:7], v[20:21], v[18:19] op_sel:[0,0,1] op_sel_hi:[1,0,0]
	v_mov_b32_e32 v12, v85
	v_mov_b32_e32 v13, v84
	v_pk_mul_f32 v[8:9], v[8:9], v[60:61]
	v_pk_mul_f32 v[50:51], v[4:5], v[24:25] op_sel_hi:[1,0]
	v_pk_mul_f32 v[52:53], v[14:15], v[60:61]
	v_mov_b32_e32 v55, v7
	v_pk_fma_f32 v[6:7], v[0:1], v[76:77], v[16:17] op_sel:[0,1,1] op_sel_hi:[1,1,0] neg_lo:[0,0,1] neg_hi:[0,0,1]
	v_pk_fma_f32 v[0:1], v[0:1], v[76:77], v[16:17] op_sel:[0,1,1] op_sel_hi:[1,1,0]
	v_pk_mul_f32 v[12:13], v[12:13], v[62:63]
	v_mov_b32_e32 v22, v63
	v_mov_b32_e32 v26, v61
	v_pk_mul_f32 v[48:49], v[2:3], v[78:79] op_sel_hi:[1,0]
	v_mov_b32_e32 v52, v53
	v_mul_u32_u24_e32 v9, 0x5b, v247
	v_mov_b32_e32 v7, v1
	v_pk_fma_f32 v[0:1], v[4:5], v[24:25], v[50:51] op_sel:[0,1,1] op_sel_hi:[1,1,0] neg_lo:[0,0,1] neg_hi:[0,0,1]
	v_pk_fma_f32 v[4:5], v[4:5], v[24:25], v[50:51] op_sel:[0,1,1] op_sel_hi:[1,1,0]
	v_pk_mul_f32 v[22:23], v[84:85], v[22:23]
	v_pk_mul_f32 v[26:27], v[14:15], v[26:27]
	v_pk_fma_f32 v[14:15], v[14:15], v[60:61], v[52:53] neg_lo:[1,0,0] neg_hi:[1,0,0]
	v_pk_mul_f32 v[52:53], v[84:85], v[62:63]
	v_add_u32_sdwa v9, v9, v254 dst_sel:DWORD dst_unused:UNUSED_PAD src0_sel:DWORD src1_sel:BYTE_0
	v_accvgpr_read_b32 v13, a3
	v_mov_b32_e32 v1, v5
	v_pk_fma_f32 v[4:5], v[2:3], v[78:79], v[48:49] op_sel:[0,1,1] op_sel_hi:[1,1,0] neg_lo:[0,0,1] neg_hi:[0,0,1]
	v_pk_fma_f32 v[2:3], v[2:3], v[78:79], v[48:49] op_sel:[0,1,1] op_sel_hi:[1,1,0]
	v_mov_b32_e32 v52, v53
	v_lshl_add_u32 v56, v9, 3, v13
	v_mov_b32_e32 v5, v3
	v_mov_b32_e32 v13, v54
	;; [unrolled: 1-line block ×5, first 2 shown]
	v_pk_fma_f32 v[52:53], v[84:85], v[62:63], v[52:53] neg_lo:[1,0,0] neg_hi:[1,0,0]
	v_pk_add_f32 v[2:3], v[54:55], v[6:7]
	v_pk_add_f32 v[16:17], v[0:1], v[4:5]
	v_pk_add_f32 v[18:19], v[6:7], v[54:55] neg_lo:[0,1] neg_hi:[0,1]
	v_pk_add_f32 v[20:21], v[4:5], v[0:1] neg_lo:[0,1] neg_hi:[0,1]
	v_pk_add_f32 v[6:7], v[12:13], v[22:23]
	v_pk_add_f32 v[0:1], v[8:9], v[26:27]
	v_mov_b32_e32 v53, v6
	v_mov_b32_e32 v15, v0
	v_pk_add_f32 v[4:5], v[52:53], v[14:15] neg_lo:[0,1] neg_hi:[0,1]
	v_mov_b32_e32 v25, v19
	v_mov_b32_e32 v12, v4
	v_pk_add_f32 v[22:23], v[4:5], v[20:21]
	v_mov_b32_e32 v24, v4
	v_mov_b32_e32 v4, v20
	;; [unrolled: 1-line block ×3, first 2 shown]
	v_pk_add_f32 v[4:5], v[24:25], v[4:5] neg_lo:[0,1] neg_hi:[0,1]
	v_mov_b32_e32 v24, v17
	v_mov_b32_e32 v25, v14
	;; [unrolled: 1-line block ×4, first 2 shown]
	v_pk_add_f32 v[14:15], v[24:25], v[14:15]
	v_pk_add_f32 v[24:25], v[0:1], v[6:7]
	v_mov_b32_e32 v8, v18
	v_pk_add_f32 v[26:27], v[14:15], v[24:25]
	v_mov_b32_e32 v14, v3
	v_mov_b32_e32 v25, v1
	;; [unrolled: 1-line block ×3, first 2 shown]
	v_pk_add_f32 v[50:51], v[14:15], v[24:25] neg_lo:[0,1] neg_hi:[0,1]
	v_mov_b32_e32 v25, v7
	v_mov_b32_e32 v14, v17
	v_pk_add_f32 v[8:9], v[8:9], v[12:13] neg_lo:[0,1] neg_hi:[0,1]
	v_accvgpr_read_b32 v49, a5
	v_pk_add_f32 v[14:15], v[24:25], v[14:15] neg_lo:[0,1] neg_hi:[0,1]
	v_pk_mul_f32 v[12:13], v[8:9], s[20:21]
	v_pk_mul_f32 v[4:5], v[4:5], s[6:7]
	v_accvgpr_read_b32 v48, a4
	v_pk_mul_f32 v[52:53], v[50:51], s[26:27]
	v_pk_mul_f32 v[14:15], v[14:15], s[24:25]
	v_mov_b32_e32 v0, v17
	v_mov_b32_e32 v6, v3
	v_pk_add_f32 v[22:23], v[22:23], v[18:19]
	v_pk_fma_f32 v[8:9], v[8:9], s[20:21], v[4:5]
	v_pk_add_f32 v[48:49], v[48:49], v[26:27]
	v_pk_fma_f32 v[24:25], v[50:51], s[26:27], v[14:15]
	v_pk_add_f32 v[18:19], v[20:21], v[18:19] neg_lo:[0,1] neg_hi:[0,1]
	v_mov_b32_e32 v20, v12
	v_mov_b32_e32 v21, v5
	v_pk_add_f32 v[0:1], v[0:1], v[6:7] neg_lo:[0,1] neg_hi:[0,1]
	v_mov_b32_e32 v2, v52
	v_mov_b32_e32 v3, v15
	;; [unrolled: 1-line block ×4, first 2 shown]
	v_pk_fma_f32 v[26:27], v[26:27], s[22:23], v[48:49] op_sel_hi:[1,0,1]
	v_pk_fma_f32 v[20:21], v[18:19], s[16:17], v[20:21] op_sel_hi:[1,0,1] neg_lo:[1,0,1] neg_hi:[1,0,1]
	v_pk_fma_f32 v[2:3], v[0:1], s[18:19], v[2:3] op_sel_hi:[1,0,1] neg_lo:[1,0,1] neg_hi:[1,0,1]
	;; [unrolled: 1-line block ×4, first 2 shown]
	v_pk_fma_f32 v[8:9], v[22:23], s[0:1], v[8:9] op_sel_hi:[1,0,1]
	v_pk_add_f32 v[24:25], v[24:25], v[26:27]
	v_pk_fma_f32 v[20:21], v[22:23], s[0:1], v[20:21] op_sel_hi:[1,0,1]
	v_pk_add_f32 v[2:3], v[2:3], v[26:27]
	;; [unrolled: 2-line block ×3, first 2 shown]
	v_pk_add_f32 v[50:51], v[24:25], v[8:9]
	v_pk_add_f32 v[8:9], v[24:25], v[8:9] neg_lo:[0,1] neg_hi:[0,1]
	v_pk_add_f32 v[6:7], v[2:3], v[20:21]
	v_pk_add_f32 v[2:3], v[2:3], v[20:21] neg_lo:[0,1] neg_hi:[0,1]
	v_pk_add_f32 v[12:13], v[0:1], v[4:5] neg_lo:[0,1] neg_hi:[0,1]
	v_pk_add_f32 v[0:1], v[0:1], v[4:5]
	v_mov_b32_e32 v24, v50
	v_mov_b32_e32 v25, v9
	;; [unrolled: 1-line block ×9, first 2 shown]
	ds_write2_b64 v56, v[48:49], v[24:25] offset1:13
	ds_write2_b64 v56, v[16:17], v[4:5] offset0:26 offset1:39
	ds_write2_b64 v56, v[0:1], v[2:3] offset0:52 offset1:65
	ds_write_b64 v56, v[8:9] offset:624
.LBB0_23:
	s_or_b64 exec, exec, s[28:29]
	s_waitcnt lgkmcnt(0)
	s_barrier
	ds_read2_b64 v[2:5], v245 offset0:91 offset1:182
	ds_read_b64 v[0:1], v245
	v_add_u32_e32 v6, 0x800, v245
	ds_read2_b64 v[6:9], v6 offset0:17 offset1:108
	v_add_u32_e32 v12, 0xc00, v245
	s_waitcnt lgkmcnt(2)
	v_pk_mul_f32 v[24:25], v[34:35], v[4:5]
	ds_read2_b64 v[12:15], v12 offset0:71 offset1:162
	v_pk_fma_f32 v[26:27], v[88:89], v[4:5], v[24:25] op_sel:[0,0,1] op_sel_hi:[1,1,0]
	v_pk_fma_f32 v[4:5], v[88:89], v[4:5], v[24:25] op_sel:[0,0,1] op_sel_hi:[1,1,0] neg_lo:[0,0,1] neg_hi:[0,0,1]
	v_add_u32_e32 v16, 0x1000, v245
	v_mov_b32_e32 v27, v5
	s_waitcnt lgkmcnt(1)
	v_pk_mul_f32 v[4:5], v[44:45], v[6:7]
	ds_read2_b64 v[16:19], v16 offset0:125 offset1:216
	v_pk_fma_f32 v[24:25], v[74:75], v[6:7], v[4:5] op_sel:[0,0,1] op_sel_hi:[1,1,0]
	v_pk_fma_f32 v[4:5], v[74:75], v[6:7], v[4:5] op_sel:[0,0,1] op_sel_hi:[1,1,0] neg_lo:[0,0,1] neg_hi:[0,0,1]
	v_add_u32_e32 v20, 0x1800, v245
	v_mov_b32_e32 v25, v5
	v_pk_mul_f32 v[4:5], v[46:47], v[8:9]
	ds_read2_b64 v[20:23], v20 offset0:51 offset1:142
	v_pk_fma_f32 v[6:7], v[70:71], v[8:9], v[4:5] op_sel:[0,0,1] op_sel_hi:[1,1,0]
	v_pk_fma_f32 v[4:5], v[70:71], v[8:9], v[4:5] op_sel:[0,0,1] op_sel_hi:[1,1,0] neg_lo:[0,0,1] neg_hi:[0,0,1]
	s_mov_b32 s18, 0xbf0a6770
	v_mov_b32_e32 v7, v5
	s_waitcnt lgkmcnt(2)
	v_pk_mul_f32 v[4:5], v[40:41], v[12:13]
	s_mov_b32 s0, 0x3f575c64
	v_pk_fma_f32 v[8:9], v[68:69], v[12:13], v[4:5] op_sel:[0,0,1] op_sel_hi:[1,1,0]
	v_pk_fma_f32 v[4:5], v[68:69], v[12:13], v[4:5] op_sel:[0,0,1] op_sel_hi:[1,1,0] neg_lo:[0,0,1] neg_hi:[0,0,1]
	s_mov_b32 s28, 0xbf68dda4
	v_mov_b32_e32 v9, v5
	v_pk_mul_f32 v[4:5], v[42:43], v[14:15]
	s_movk_i32 s3, 0x1000
	v_pk_fma_f32 v[12:13], v[66:67], v[14:15], v[4:5] op_sel:[0,0,1] op_sel_hi:[1,1,0]
	v_pk_fma_f32 v[4:5], v[66:67], v[14:15], v[4:5] op_sel:[0,0,1] op_sel_hi:[1,1,0] neg_lo:[0,0,1] neg_hi:[0,0,1]
	s_mov_b32 s2, 0x3ed4b147
	v_mov_b32_e32 v13, v5
	s_waitcnt lgkmcnt(1)
	v_pk_mul_f32 v[4:5], v[36:37], v[16:17]
	s_mov_b32 s16, 0xbf7d64f0
	v_pk_fma_f32 v[14:15], v[64:65], v[16:17], v[4:5] op_sel:[0,0,1] op_sel_hi:[1,1,0]
	v_pk_fma_f32 v[4:5], v[64:65], v[16:17], v[4:5] op_sel:[0,0,1] op_sel_hi:[1,1,0] neg_lo:[0,0,1] neg_hi:[0,0,1]
	s_mov_b32 s6, 0xbe11bafb
	v_mov_b32_e32 v15, v5
	v_pk_mul_f32 v[4:5], v[38:39], v[18:19]
	s_mov_b32 s22, 0xbf4178ce
	v_pk_fma_f32 v[16:17], v[72:73], v[18:19], v[4:5] op_sel:[0,0,1] op_sel_hi:[1,1,0]
	v_pk_fma_f32 v[4:5], v[72:73], v[18:19], v[4:5] op_sel:[0,0,1] op_sel_hi:[1,1,0] neg_lo:[0,0,1] neg_hi:[0,0,1]
	s_mov_b32 s20, 0xbf27a4f4
	v_mov_b32_e32 v17, v5
	s_waitcnt lgkmcnt(0)
	v_pk_mul_f32 v[4:5], v[28:29], v[20:21] op_sel:[1,0]
	s_mov_b32 s26, 0xbe903f40
	v_pk_fma_f32 v[18:19], v[28:29], v[20:21], v[4:5] op_sel:[0,0,1] op_sel_hi:[1,1,0]
	v_pk_fma_f32 v[4:5], v[28:29], v[20:21], v[4:5] op_sel:[0,0,1] op_sel_hi:[0,1,0] neg_lo:[0,0,1] neg_hi:[0,0,1]
	v_mov_b32_e32 v19, v5
	v_pk_mul_f32 v[4:5], v[30:31], v[22:23] op_sel:[1,0]
	s_mov_b32 s24, 0xbf75a155
	v_pk_fma_f32 v[20:21], v[30:31], v[22:23], v[4:5] op_sel:[0,0,1] op_sel_hi:[1,1,0]
	v_pk_fma_f32 v[4:5], v[30:31], v[22:23], v[4:5] op_sel:[0,0,1] op_sel_hi:[0,1,0] neg_lo:[0,0,1] neg_hi:[0,0,1]
	v_mov_b32_e32 v21, v5
	v_pk_mul_f32 v[4:5], v[32:33], v[2:3]
	v_pk_add_f32 v[30:31], v[26:27], v[18:19]
	v_pk_fma_f32 v[22:23], v[10:11], v[2:3], v[4:5] op_sel:[0,0,1] op_sel_hi:[1,1,0]
	v_pk_fma_f32 v[2:3], v[10:11], v[2:3], v[4:5] op_sel:[0,0,1] op_sel_hi:[1,1,0] neg_lo:[0,0,1] neg_hi:[0,0,1]
	s_mov_b32 s30, 0x3f7d64f0
	v_mov_b32_e32 v23, v3
	v_pk_add_f32 v[2:3], v[0:1], v[22:23]
	v_pk_add_f32 v[10:11], v[22:23], v[20:21]
	;; [unrolled: 1-line block ×3, first 2 shown]
	s_mov_b32 s34, 0x3f0a6770
	v_pk_add_f32 v[2:3], v[2:3], v[24:25]
	s_nop 0
	v_pk_add_f32 v[2:3], v[2:3], v[6:7]
	s_nop 0
	;; [unrolled: 2-line block ×6, first 2 shown]
	v_pk_add_f32 v[2:3], v[2:3], v[18:19]
	v_pk_add_f32 v[18:19], v[26:27], v[18:19] neg_lo:[0,1] neg_hi:[0,1]
	v_pk_add_f32 v[2:3], v[2:3], v[20:21]
	v_pk_add_f32 v[20:21], v[22:23], v[20:21] neg_lo:[0,1] neg_hi:[0,1]
	v_pk_mul_f32 v[26:27], v[18:19], s[28:29] op_sel_hi:[1,0]
	v_pk_mul_f32 v[4:5], v[20:21], s[18:19] op_sel_hi:[1,0]
	v_pk_fma_f32 v[32:33], v[30:31], s[2:3], v[26:27] op_sel:[0,0,1] op_sel_hi:[1,0,0]
	v_pk_fma_f32 v[22:23], v[10:11], s[0:1], v[4:5] op_sel:[0,0,1] op_sel_hi:[1,0,0]
	v_pk_fma_f32 v[28:29], v[10:11], s[0:1], v[4:5] op_sel:[0,0,1] op_sel_hi:[1,0,0] neg_lo:[0,0,1] neg_hi:[0,0,1]
	v_mov_b32_e32 v4, v22
	v_mov_b32_e32 v5, v29
	v_pk_fma_f32 v[26:27], v[30:31], s[2:3], v[26:27] op_sel:[0,0,1] op_sel_hi:[1,0,0] neg_lo:[0,0,1] neg_hi:[0,0,1]
	v_pk_add_f32 v[4:5], v[0:1], v[4:5]
	v_mov_b32_e32 v34, v32
	v_mov_b32_e32 v35, v27
	v_pk_add_f32 v[4:5], v[34:35], v[4:5]
	v_pk_add_f32 v[34:35], v[24:25], v[16:17]
	v_pk_add_f32 v[16:17], v[24:25], v[16:17] neg_lo:[0,1] neg_hi:[0,1]
	ds_write_b64 v248, v[2:3]
	v_pk_mul_f32 v[24:25], v[16:17], s[16:17] op_sel_hi:[1,0]
	v_pk_mul_f32 v[2:3], v[20:21], s[28:29] op_sel_hi:[1,0]
	v_pk_fma_f32 v[36:37], v[34:35], s[6:7], v[24:25] op_sel:[0,0,1] op_sel_hi:[1,0,0]
	v_pk_fma_f32 v[24:25], v[34:35], s[6:7], v[24:25] op_sel:[0,0,1] op_sel_hi:[1,0,0] neg_lo:[0,0,1] neg_hi:[0,0,1]
	v_mov_b32_e32 v38, v36
	v_mov_b32_e32 v39, v25
	v_pk_add_f32 v[4:5], v[38:39], v[4:5]
	v_pk_add_f32 v[38:39], v[6:7], v[14:15]
	v_pk_add_f32 v[6:7], v[6:7], v[14:15] neg_lo:[0,1] neg_hi:[0,1]
	v_pk_mul_f32 v[50:51], v[18:19], s[22:23] op_sel_hi:[1,0]
	v_pk_mul_f32 v[14:15], v[6:7], s[22:23] op_sel_hi:[1,0]
	v_pk_fma_f32 v[52:53], v[30:31], s[20:21], v[50:51] op_sel:[0,0,1] op_sel_hi:[1,0,0]
	v_pk_fma_f32 v[40:41], v[38:39], s[20:21], v[14:15] op_sel:[0,0,1] op_sel_hi:[1,0,0]
	v_pk_fma_f32 v[14:15], v[38:39], s[20:21], v[14:15] op_sel:[0,0,1] op_sel_hi:[1,0,0] neg_lo:[0,0,1] neg_hi:[0,0,1]
	v_mov_b32_e32 v42, v40
	v_mov_b32_e32 v43, v15
	v_pk_add_f32 v[4:5], v[42:43], v[4:5]
	v_pk_add_f32 v[42:43], v[8:9], v[12:13]
	v_pk_add_f32 v[8:9], v[8:9], v[12:13] neg_lo:[0,1] neg_hi:[0,1]
	v_pk_fma_f32 v[50:51], v[30:31], s[20:21], v[50:51] op_sel:[0,0,1] op_sel_hi:[1,0,0] neg_lo:[0,0,1] neg_hi:[0,0,1]
	v_pk_mul_f32 v[12:13], v[8:9], s[26:27] op_sel_hi:[1,0]
	v_mov_b32_e32 v54, v52
	v_pk_fma_f32 v[44:45], v[42:43], s[24:25], v[12:13] op_sel:[0,0,1] op_sel_hi:[1,0,0]
	v_pk_fma_f32 v[12:13], v[42:43], s[24:25], v[12:13] op_sel:[0,0,1] op_sel_hi:[1,0,0] neg_lo:[0,0,1] neg_hi:[0,0,1]
	v_mov_b32_e32 v46, v44
	v_mov_b32_e32 v47, v13
	v_pk_add_f32 v[4:5], v[46:47], v[4:5]
	v_pk_fma_f32 v[46:47], v[10:11], s[2:3], v[2:3] op_sel:[0,0,1] op_sel_hi:[1,0,0]
	v_pk_fma_f32 v[2:3], v[10:11], s[2:3], v[2:3] op_sel:[0,0,1] op_sel_hi:[1,0,0] neg_lo:[0,0,1] neg_hi:[0,0,1]
	v_mov_b32_e32 v48, v46
	v_mov_b32_e32 v49, v3
	v_pk_add_f32 v[48:49], v[0:1], v[48:49]
	v_mov_b32_e32 v55, v51
	s_mov_b32 s28, 0x3e903f40
	v_pk_add_f32 v[48:49], v[54:55], v[48:49]
	v_pk_mul_f32 v[54:55], v[16:17], s[28:29] op_sel_hi:[1,0]
	v_pk_mul_f32 v[68:69], v[18:19], s[28:29] op_sel_hi:[1,0]
	v_pk_fma_f32 v[56:57], v[34:35], s[24:25], v[54:55] op_sel:[0,0,1] op_sel_hi:[1,0,0]
	v_pk_fma_f32 v[54:55], v[34:35], s[24:25], v[54:55] op_sel:[0,0,1] op_sel_hi:[1,0,0] neg_lo:[0,0,1] neg_hi:[0,0,1]
	v_mov_b32_e32 v58, v56
	v_mov_b32_e32 v59, v55
	v_pk_add_f32 v[48:49], v[58:59], v[48:49]
	v_pk_mul_f32 v[58:59], v[6:7], s[30:31] op_sel_hi:[1,0]
	v_pk_fma_f32 v[70:71], v[30:31], s[24:25], v[68:69] op_sel:[0,0,1] op_sel_hi:[1,0,0]
	v_pk_fma_f32 v[60:61], v[38:39], s[6:7], v[58:59] op_sel:[0,0,1] op_sel_hi:[1,0,0]
	v_pk_fma_f32 v[58:59], v[38:39], s[6:7], v[58:59] op_sel:[0,0,1] op_sel_hi:[1,0,0] neg_lo:[0,0,1] neg_hi:[0,0,1]
	v_mov_b32_e32 v62, v60
	v_mov_b32_e32 v63, v59
	v_pk_add_f32 v[48:49], v[62:63], v[48:49]
	v_pk_mul_f32 v[62:63], v[8:9], s[34:35] op_sel_hi:[1,0]
	v_pk_fma_f32 v[68:69], v[30:31], s[24:25], v[68:69] op_sel:[0,0,1] op_sel_hi:[1,0,0] neg_lo:[0,0,1] neg_hi:[0,0,1]
	v_pk_fma_f32 v[64:65], v[42:43], s[0:1], v[62:63] op_sel:[0,0,1] op_sel_hi:[1,0,0]
	v_pk_fma_f32 v[62:63], v[42:43], s[0:1], v[62:63] op_sel:[0,0,1] op_sel_hi:[1,0,0] neg_lo:[0,0,1] neg_hi:[0,0,1]
	v_mov_b32_e32 v66, v64
	v_mov_b32_e32 v67, v63
	v_pk_add_f32 v[48:49], v[66:67], v[48:49]
	ds_write2_b64 v248, v[4:5], v[48:49] offset0:91 offset1:182
	v_pk_mul_f32 v[4:5], v[20:21], s[16:17] op_sel_hi:[1,0]
	v_mov_b32_e32 v72, v70
	v_pk_fma_f32 v[48:49], v[10:11], s[6:7], v[4:5] op_sel:[0,0,1] op_sel_hi:[1,0,0]
	v_pk_fma_f32 v[66:67], v[10:11], s[6:7], v[4:5] op_sel:[0,0,1] op_sel_hi:[1,0,0] neg_lo:[0,0,1] neg_hi:[0,0,1]
	v_mov_b32_e32 v4, v48
	v_mov_b32_e32 v5, v67
	v_pk_add_f32 v[4:5], v[0:1], v[4:5]
	v_mov_b32_e32 v73, v69
	s_mov_b32 s28, 0x3f68dda4
	v_pk_add_f32 v[4:5], v[72:73], v[4:5]
	v_pk_mul_f32 v[72:73], v[16:17], s[28:29] op_sel_hi:[1,0]
	v_pk_mul_f32 v[90:91], v[18:19], s[30:31] op_sel_hi:[1,0]
	v_pk_fma_f32 v[74:75], v[34:35], s[2:3], v[72:73] op_sel:[0,0,1] op_sel_hi:[1,0,0]
	v_pk_fma_f32 v[72:73], v[34:35], s[2:3], v[72:73] op_sel:[0,0,1] op_sel_hi:[1,0,0] neg_lo:[0,0,1] neg_hi:[0,0,1]
	v_mov_b32_e32 v76, v74
	v_mov_b32_e32 v77, v73
	v_pk_add_f32 v[4:5], v[76:77], v[4:5]
	v_pk_mul_f32 v[76:77], v[6:7], s[18:19] op_sel_hi:[1,0]
	v_pk_fma_f32 v[92:93], v[30:31], s[6:7], v[90:91] op_sel:[0,0,1] op_sel_hi:[1,0,0]
	v_pk_fma_f32 v[78:79], v[38:39], s[0:1], v[76:77] op_sel:[0,0,1] op_sel_hi:[1,0,0]
	v_pk_fma_f32 v[76:77], v[38:39], s[0:1], v[76:77] op_sel:[0,0,1] op_sel_hi:[1,0,0] neg_lo:[0,0,1] neg_hi:[0,0,1]
	v_mov_b32_e32 v80, v78
	v_mov_b32_e32 v81, v77
	v_pk_add_f32 v[4:5], v[80:81], v[4:5]
	v_pk_mul_f32 v[80:81], v[8:9], s[22:23] op_sel_hi:[1,0]
	v_pk_fma_f32 v[90:91], v[30:31], s[6:7], v[90:91] op_sel:[0,0,1] op_sel_hi:[1,0,0] neg_lo:[0,0,1] neg_hi:[0,0,1]
	v_pk_fma_f32 v[82:83], v[42:43], s[20:21], v[80:81] op_sel:[0,0,1] op_sel_hi:[1,0,0]
	v_pk_fma_f32 v[80:81], v[42:43], s[20:21], v[80:81] op_sel:[0,0,1] op_sel_hi:[1,0,0] neg_lo:[0,0,1] neg_hi:[0,0,1]
	v_mov_b32_e32 v84, v82
	v_mov_b32_e32 v85, v81
	v_pk_add_f32 v[84:85], v[84:85], v[4:5]
	v_pk_mul_f32 v[4:5], v[20:21], s[22:23] op_sel_hi:[1,0]
	v_mov_b32_e32 v94, v92
	v_pk_fma_f32 v[86:87], v[10:11], s[20:21], v[4:5] op_sel:[0,0,1] op_sel_hi:[1,0,0]
	v_pk_fma_f32 v[88:89], v[10:11], s[20:21], v[4:5] op_sel:[0,0,1] op_sel_hi:[1,0,0] neg_lo:[0,0,1] neg_hi:[0,0,1]
	v_mov_b32_e32 v4, v86
	v_mov_b32_e32 v5, v89
	v_pk_add_f32 v[4:5], v[0:1], v[4:5]
	v_mov_b32_e32 v95, v91
	v_pk_add_f32 v[4:5], v[94:95], v[4:5]
	v_pk_mul_f32 v[94:95], v[16:17], s[18:19] op_sel_hi:[1,0]
	v_pk_mul_f32 v[20:21], v[20:21], s[26:27] op_sel_hi:[1,0]
	v_pk_fma_f32 v[96:97], v[34:35], s[0:1], v[94:95] op_sel:[0,0,1] op_sel_hi:[1,0,0]
	v_pk_fma_f32 v[94:95], v[34:35], s[0:1], v[94:95] op_sel:[0,0,1] op_sel_hi:[1,0,0] neg_lo:[0,0,1] neg_hi:[0,0,1]
	v_mov_b32_e32 v98, v96
	v_mov_b32_e32 v99, v95
	v_pk_add_f32 v[4:5], v[98:99], v[4:5]
	v_pk_mul_f32 v[98:99], v[6:7], s[26:27] op_sel_hi:[1,0]
	v_pk_mul_f32 v[18:19], v[18:19], s[34:35] op_sel_hi:[1,0]
	v_pk_fma_f32 v[100:101], v[38:39], s[24:25], v[98:99] op_sel:[0,0,1] op_sel_hi:[1,0,0]
	v_pk_fma_f32 v[98:99], v[38:39], s[24:25], v[98:99] op_sel:[0,0,1] op_sel_hi:[1,0,0] neg_lo:[0,0,1] neg_hi:[0,0,1]
	v_mov_b32_e32 v102, v100
	;; [unrolled: 7-line block ×3, first 2 shown]
	v_mov_b32_e32 v107, v103
	v_pk_add_f32 v[106:107], v[106:107], v[4:5]
	v_add_u32_e32 v4, 0x800, v248
	ds_write2_b64 v4, v[84:85], v[106:107] offset0:17 offset1:108
	v_pk_fma_f32 v[84:85], v[10:11], s[24:25], v[20:21] op_sel:[0,0,1] op_sel_hi:[1,0,0]
	v_pk_fma_f32 v[10:11], v[10:11], s[24:25], v[20:21] op_sel:[0,0,1] op_sel_hi:[1,0,0] neg_lo:[0,0,1] neg_hi:[0,0,1]
	v_mov_b32_e32 v20, v84
	v_mov_b32_e32 v21, v11
	v_pk_fma_f32 v[106:107], v[30:31], s[0:1], v[18:19] op_sel:[0,0,1] op_sel_hi:[1,0,0]
	v_pk_fma_f32 v[18:19], v[30:31], s[0:1], v[18:19] op_sel:[0,0,1] op_sel_hi:[1,0,0] neg_lo:[0,0,1] neg_hi:[0,0,1]
	v_pk_add_f32 v[20:21], v[0:1], v[20:21]
	v_mov_b32_e32 v30, v106
	v_mov_b32_e32 v31, v19
	v_pk_add_f32 v[20:21], v[30:31], v[20:21]
	v_pk_fma_f32 v[30:31], v[34:35], s[20:21], v[16:17] op_sel:[0,0,1] op_sel_hi:[1,0,0]
	v_pk_fma_f32 v[16:17], v[34:35], s[20:21], v[16:17] op_sel:[0,0,1] op_sel_hi:[1,0,0] neg_lo:[0,0,1] neg_hi:[0,0,1]
	v_mov_b32_e32 v34, v30
	v_mov_b32_e32 v35, v17
	v_pk_mul_f32 v[6:7], v[6:7], s[28:29] op_sel_hi:[1,0]
	v_mov_b32_e32 v11, v85
	v_pk_add_f32 v[20:21], v[34:35], v[20:21]
	v_pk_fma_f32 v[34:35], v[38:39], s[2:3], v[6:7] op_sel:[0,0,1] op_sel_hi:[1,0,0]
	v_pk_fma_f32 v[6:7], v[38:39], s[2:3], v[6:7] op_sel:[0,0,1] op_sel_hi:[1,0,0] neg_lo:[0,0,1] neg_hi:[0,0,1]
	v_pk_add_f32 v[10:11], v[0:1], v[10:11]
	v_mov_b32_e32 v19, v107
	v_mov_b32_e32 v38, v34
	;; [unrolled: 1-line block ×3, first 2 shown]
	v_pk_mul_f32 v[8:9], v[8:9], s[16:17] op_sel_hi:[1,0]
	v_pk_add_f32 v[10:11], v[18:19], v[10:11]
	v_mov_b32_e32 v17, v31
	v_pk_add_f32 v[20:21], v[38:39], v[20:21]
	v_pk_fma_f32 v[38:39], v[42:43], s[6:7], v[8:9] op_sel:[0,0,1] op_sel_hi:[1,0,0]
	v_pk_fma_f32 v[8:9], v[42:43], s[6:7], v[8:9] op_sel:[0,0,1] op_sel_hi:[1,0,0] neg_lo:[0,0,1] neg_hi:[0,0,1]
	v_pk_add_f32 v[10:11], v[16:17], v[10:11]
	v_mov_b32_e32 v7, v35
	v_mov_b32_e32 v42, v38
	;; [unrolled: 1-line block ×3, first 2 shown]
	v_pk_add_f32 v[6:7], v[6:7], v[10:11]
	v_mov_b32_e32 v9, v39
	v_pk_add_f32 v[20:21], v[42:43], v[20:21]
	v_pk_add_f32 v[6:7], v[8:9], v[6:7]
	v_add_u32_e32 v3, 0xc00, v248
	v_mov_b32_e32 v89, v87
	ds_write2_b64 v3, v[20:21], v[6:7] offset0:71 offset1:162
	v_pk_add_f32 v[6:7], v[0:1], v[88:89]
	v_mov_b32_e32 v91, v93
	v_pk_add_f32 v[6:7], v[90:91], v[6:7]
	v_mov_b32_e32 v95, v97
	;; [unrolled: 2-line block ×4, first 2 shown]
	v_mov_b32_e32 v67, v49
	v_mov_b32_e32 v3, v47
	;; [unrolled: 1-line block ×3, first 2 shown]
	v_pk_add_f32 v[8:9], v[102:103], v[6:7]
	v_pk_add_f32 v[6:7], v[0:1], v[66:67]
	v_mov_b32_e32 v69, v71
	v_pk_add_f32 v[2:3], v[0:1], v[2:3]
	v_mov_b32_e32 v51, v53
	v_pk_add_f32 v[0:1], v[0:1], v[28:29]
	v_mov_b32_e32 v27, v33
	v_pk_add_f32 v[6:7], v[68:69], v[6:7]
	v_mov_b32_e32 v73, v75
	v_pk_add_f32 v[2:3], v[50:51], v[2:3]
	v_mov_b32_e32 v55, v57
	v_pk_add_f32 v[0:1], v[26:27], v[0:1]
	v_mov_b32_e32 v25, v37
	v_pk_add_f32 v[6:7], v[72:73], v[6:7]
	v_mov_b32_e32 v77, v79
	v_pk_add_f32 v[2:3], v[54:55], v[2:3]
	v_mov_b32_e32 v59, v61
	v_pk_add_f32 v[0:1], v[24:25], v[0:1]
	v_mov_b32_e32 v15, v41
	v_pk_add_f32 v[6:7], v[76:77], v[6:7]
	v_mov_b32_e32 v81, v83
	v_pk_add_f32 v[2:3], v[58:59], v[2:3]
	v_mov_b32_e32 v63, v65
	v_pk_add_f32 v[0:1], v[14:15], v[0:1]
	v_mov_b32_e32 v13, v45
	v_pk_add_f32 v[10:11], v[80:81], v[6:7]
	v_add_u32_e32 v6, 0x1000, v248
	v_pk_add_f32 v[2:3], v[62:63], v[2:3]
	v_pk_add_f32 v[0:1], v[12:13], v[0:1]
	v_add_u32_e32 v5, 0x1800, v248
	ds_write2_b64 v6, v[8:9], v[10:11] offset0:125 offset1:216
	ds_write2_b64 v5, v[2:3], v[0:1] offset0:51 offset1:142
	s_waitcnt lgkmcnt(0)
	s_barrier
	s_and_b64 exec, exec, s[4:5]
	s_cbranch_execz .LBB0_25
; %bb.24:
	global_load_dwordx2 v[0:1], v250, s[12:13]
	global_load_dwordx2 v[16:17], v250, s[12:13] offset:616
	global_load_dwordx2 v[18:19], v250, s[12:13] offset:1232
	;; [unrolled: 1-line block ×4, first 2 shown]
	ds_read_b64 v[26:27], v248
	ds_read2_b64 v[8:11], v248 offset0:77 offset1:154
	global_load_dwordx2 v[32:33], v250, s[12:13] offset:3080
	global_load_dwordx2 v[34:35], v250, s[12:13] offset:3696
	v_add_u32_e32 v3, 0x400, v248
	v_mad_u64_u32 v[24:25], s[0:1], s10, v246, 0
	v_mov_b32_e32 v251, 0
	ds_read2_b64 v[12:15], v3 offset0:103 offset1:180
	v_mad_u64_u32 v[28:29], s[4:5], s8, v244, 0
	v_mov_b32_e32 v2, v25
	v_lshl_add_u64 v[36:37], s[12:13], 0, v[250:251]
	v_mov_b32_e32 v38, v29
	v_mad_u64_u32 v[40:41], s[4:5], s11, v246, v[2:3]
	v_add_co_u32_e32 v2, vcc, s3, v36
	v_mad_u64_u32 v[38:39], s[4:5], s9, v244, v[38:39]
	s_nop 0
	v_addc_co_u32_e32 v3, vcc, 0, v37, vcc
	v_mov_b32_e32 v29, v38
	v_mov_b32_e32 v25, v40
	global_load_dwordx2 v[36:37], v[2:3], off offset:2680
	v_mov_b32_e32 v22, s14
	v_mov_b32_e32 v23, s15
	v_lshl_add_u64 v[22:23], v[24:25], 3, v[22:23]
	s_mov_b32 s0, 0x27a3ee9c
	v_mov_b32_e32 v42, 0x268
	v_lshl_add_u64 v[22:23], v[28:29], 3, v[22:23]
	s_mov_b32 s1, 0x3f505e1d
	s_mul_i32 s2, s9, 0x268
	v_mad_u64_u32 v[24:25], s[4:5], s8, v42, v[22:23]
	v_add_u32_e32 v25, s2, v25
	v_mad_u64_u32 v[28:29], s[4:5], s8, v42, v[24:25]
	v_add_u32_e32 v29, s2, v29
	s_waitcnt vmcnt(7) lgkmcnt(2)
	v_mul_f32_e32 v7, v27, v1
	v_mul_f32_e32 v1, v26, v1
	s_waitcnt vmcnt(6) lgkmcnt(1)
	v_mul_f32_e32 v38, v9, v17
	s_waitcnt vmcnt(5)
	v_mul_f32_e32 v39, v11, v19
	v_fmac_f32_e32 v7, v26, v0
	v_fma_f32 v26, v0, v27, -v1
	global_load_dwordx2 v[0:1], v[2:3], off offset:216
	v_mul_f32_e32 v19, v10, v19
	s_waitcnt vmcnt(5) lgkmcnt(0)
	v_mul_f32_e32 v40, v13, v21
	v_mul_f32_e32 v21, v12, v21
	v_fmac_f32_e32 v38, v8, v16
	v_fmac_f32_e32 v39, v10, v18
	v_fma_f32 v27, v18, v11, -v19
	v_fmac_f32_e32 v40, v12, v20
	v_fma_f32 v41, v20, v13, -v21
	v_cvt_f64_f32_e32 v[12:13], v38
	v_cvt_f64_f32_e32 v[18:19], v39
	global_load_dwordx2 v[38:39], v[2:3], off offset:832
	v_mul_f32_e32 v17, v8, v17
	v_fma_f32 v16, v16, v9, -v17
	v_cvt_f64_f32_e32 v[8:9], v7
	v_cvt_f64_f32_e32 v[10:11], v26
	;; [unrolled: 1-line block ×4, first 2 shown]
	v_mul_f64 v[8:9], v[8:9], s[0:1]
	v_mul_f64 v[10:11], v[10:11], s[0:1]
	;; [unrolled: 1-line block ×6, first 2 shown]
	v_cvt_f32_f64_e32 v8, v[8:9]
	v_cvt_f32_f64_e32 v9, v[10:11]
	;; [unrolled: 1-line block ×6, first 2 shown]
	global_store_dwordx2 v[22:23], v[8:9], off
	global_store_dwordx2 v[24:25], v[10:11], off
	global_store_dwordx2 v[28:29], v[12:13], off
	global_load_dwordx2 v[12:13], v[2:3], off offset:1448
	v_cvt_f64_f32_e32 v[8:9], v41
	s_waitcnt vmcnt(9)
	v_mul_f32_e32 v7, v15, v31
	v_mul_f64 v[8:9], v[8:9], s[0:1]
	v_fmac_f32_e32 v7, v14, v30
	v_cvt_f32_f64_e32 v17, v[8:9]
	v_cvt_f64_f32_e32 v[8:9], v7
	v_mul_f32_e32 v7, v14, v31
	v_fma_f32 v7, v30, v15, -v7
	global_load_dwordx2 v[14:15], v[2:3], off offset:2064
	v_cvt_f64_f32_e32 v[26:27], v40
	v_mul_f64 v[26:27], v[26:27], s[0:1]
	v_mad_u64_u32 v[18:19], s[4:5], s8, v42, v[28:29]
	v_cvt_f32_f64_e32 v16, v[26:27]
	v_add_u32_e32 v19, s2, v19
	v_mul_f64 v[8:9], v[8:9], s[0:1]
	global_store_dwordx2 v[18:19], v[16:17], off
	v_cvt_f32_f64_e32 v16, v[8:9]
	v_cvt_f64_f32_e32 v[8:9], v7
	v_mul_f64 v[8:9], v[8:9], s[0:1]
	v_cvt_f32_f64_e32 v17, v[8:9]
	ds_read2_b64 v[8:11], v4 offset0:129 offset1:206
	v_mad_u64_u32 v[18:19], s[4:5], s8, v42, v[18:19]
	v_add_u32_e32 v19, s2, v19
	global_store_dwordx2 v[18:19], v[16:17], off
	s_waitcnt vmcnt(11) lgkmcnt(0)
	v_mul_f32_e32 v4, v9, v33
	v_fmac_f32_e32 v4, v8, v32
	v_cvt_f64_f32_e32 v[16:17], v4
	v_mul_f32_e32 v4, v8, v33
	v_fma_f32 v4, v32, v9, -v4
	v_cvt_f64_f32_e32 v[8:9], v4
	s_waitcnt vmcnt(10)
	v_mul_f32_e32 v4, v11, v35
	v_mul_f64 v[16:17], v[16:17], s[0:1]
	v_mul_f64 v[8:9], v[8:9], s[0:1]
	v_fmac_f32_e32 v4, v10, v34
	v_cvt_f32_f64_e32 v16, v[16:17]
	v_cvt_f32_f64_e32 v17, v[8:9]
	v_mad_u64_u32 v[18:19], s[4:5], s8, v42, v[18:19]
	v_cvt_f64_f32_e32 v[8:9], v4
	v_mul_f32_e32 v4, v10, v35
	v_add_u32_e32 v19, s2, v19
	v_mul_f64 v[8:9], v[8:9], s[0:1]
	v_fma_f32 v4, v34, v11, -v4
	global_store_dwordx2 v[18:19], v[16:17], off
	v_cvt_f32_f64_e32 v16, v[8:9]
	v_cvt_f64_f32_e32 v[8:9], v4
	v_mul_f64 v[8:9], v[8:9], s[0:1]
	v_cvt_f32_f64_e32 v17, v[8:9]
	ds_read2_b64 v[6:9], v6 offset0:27 offset1:104
	v_mad_u64_u32 v[10:11], s[4:5], s8, v42, v[18:19]
	v_add_u32_e32 v11, s2, v11
	global_store_dwordx2 v[10:11], v[16:17], off
	s_waitcnt vmcnt(10) lgkmcnt(0)
	v_mul_f32_e32 v4, v7, v1
	v_fmac_f32_e32 v4, v6, v0
	v_cvt_f64_f32_e32 v[16:17], v4
	v_mul_f32_e32 v1, v6, v1
	s_waitcnt vmcnt(9)
	v_mul_f32_e32 v4, v9, v39
	v_fma_f32 v0, v0, v7, -v1
	v_fmac_f32_e32 v4, v8, v38
	v_cvt_f64_f32_e32 v[0:1], v0
	v_cvt_f64_f32_e32 v[6:7], v4
	v_mul_f32_e32 v4, v8, v39
	v_mul_f64 v[16:17], v[16:17], s[0:1]
	v_mul_f64 v[0:1], v[0:1], s[0:1]
	;; [unrolled: 1-line block ×3, first 2 shown]
	v_fma_f32 v4, v38, v9, -v4
	v_cvt_f32_f64_e32 v16, v[16:17]
	v_cvt_f32_f64_e32 v17, v[0:1]
	v_mad_u64_u32 v[0:1], s[4:5], s8, v42, v[10:11]
	v_cvt_f32_f64_e32 v10, v[6:7]
	v_cvt_f64_f32_e32 v[6:7], v4
	v_mul_f64 v[6:7], v[6:7], s[0:1]
	v_add_u32_e32 v4, 0x1400, v248
	v_cvt_f32_f64_e32 v11, v[6:7]
	ds_read2_b64 v[6:9], v4 offset0:53 offset1:130
	v_add_u32_e32 v1, s2, v1
	global_store_dwordx2 v[0:1], v[16:17], off
	v_mad_u64_u32 v[0:1], s[4:5], s8, v42, v[0:1]
	s_waitcnt vmcnt(6) lgkmcnt(0)
	v_mul_f32_e32 v4, v7, v13
	v_add_u32_e32 v1, s2, v1
	v_fmac_f32_e32 v4, v6, v12
	global_store_dwordx2 v[0:1], v[10:11], off
	v_cvt_f64_f32_e32 v[10:11], v4
	v_mul_f32_e32 v4, v6, v13
	v_fma_f32 v4, v12, v7, -v4
	v_cvt_f64_f32_e32 v[6:7], v4
	s_waitcnt vmcnt(6)
	v_mul_f32_e32 v4, v9, v15
	v_mul_f64 v[10:11], v[10:11], s[0:1]
	v_mul_f64 v[6:7], v[6:7], s[0:1]
	v_fmac_f32_e32 v4, v8, v14
	v_cvt_f32_f64_e32 v10, v[10:11]
	v_cvt_f32_f64_e32 v11, v[6:7]
	v_mad_u64_u32 v[0:1], s[4:5], s8, v42, v[0:1]
	v_cvt_f64_f32_e32 v[6:7], v4
	v_mul_f32_e32 v4, v8, v15
	v_add_u32_e32 v1, s2, v1
	v_mul_f64 v[6:7], v[6:7], s[0:1]
	v_fma_f32 v4, v14, v9, -v4
	global_store_dwordx2 v[0:1], v[10:11], off
	v_cvt_f32_f64_e32 v10, v[6:7]
	v_cvt_f64_f32_e32 v[6:7], v4
	v_mul_f64 v[6:7], v[6:7], s[0:1]
	v_cvt_f32_f64_e32 v11, v[6:7]
	ds_read2_b64 v[4:7], v5 offset0:79 offset1:156
	v_mad_u64_u32 v[0:1], s[4:5], s8, v42, v[0:1]
	v_add_u32_e32 v1, s2, v1
	global_store_dwordx2 v[0:1], v[10:11], off
	s_waitcnt lgkmcnt(0)
	v_mul_f32_e32 v8, v5, v37
	v_fmac_f32_e32 v8, v4, v36
	v_mul_f32_e32 v4, v4, v37
	v_fma_f32 v4, v36, v5, -v4
	v_cvt_f64_f32_e32 v[8:9], v8
	v_cvt_f64_f32_e32 v[4:5], v4
	v_mul_f64 v[8:9], v[8:9], s[0:1]
	v_mul_f64 v[4:5], v[4:5], s[0:1]
	v_mad_u64_u32 v[0:1], s[4:5], s8, v42, v[0:1]
	v_cvt_f32_f64_e32 v8, v[8:9]
	v_cvt_f32_f64_e32 v9, v[4:5]
	v_add_u32_e32 v1, s2, v1
	global_store_dwordx2 v[0:1], v[8:9], off
	global_load_dwordx2 v[2:3], v[2:3], off offset:3296
	s_waitcnt vmcnt(0)
	v_mul_f32_e32 v4, v7, v3
	v_mul_f32_e32 v3, v6, v3
	v_fmac_f32_e32 v4, v6, v2
	v_fma_f32 v2, v2, v7, -v3
	v_cvt_f64_f32_e32 v[4:5], v4
	v_cvt_f64_f32_e32 v[2:3], v2
	v_mul_f64 v[4:5], v[4:5], s[0:1]
	v_mul_f64 v[2:3], v[2:3], s[0:1]
	v_mad_u64_u32 v[0:1], s[0:1], s8, v42, v[0:1]
	v_cvt_f32_f64_e32 v4, v[4:5]
	v_cvt_f32_f64_e32 v5, v[2:3]
	v_add_u32_e32 v1, s2, v1
	global_store_dwordx2 v[0:1], v[4:5], off
.LBB0_25:
	s_endpgm
	.section	.rodata,"a",@progbits
	.p2align	6, 0x0
	.amdhsa_kernel bluestein_single_back_len1001_dim1_sp_op_CI_CI
		.amdhsa_group_segment_fixed_size 16016
		.amdhsa_private_segment_fixed_size 0
		.amdhsa_kernarg_size 104
		.amdhsa_user_sgpr_count 2
		.amdhsa_user_sgpr_dispatch_ptr 0
		.amdhsa_user_sgpr_queue_ptr 0
		.amdhsa_user_sgpr_kernarg_segment_ptr 1
		.amdhsa_user_sgpr_dispatch_id 0
		.amdhsa_user_sgpr_kernarg_preload_length 0
		.amdhsa_user_sgpr_kernarg_preload_offset 0
		.amdhsa_user_sgpr_private_segment_size 0
		.amdhsa_uses_dynamic_stack 0
		.amdhsa_enable_private_segment 0
		.amdhsa_system_sgpr_workgroup_id_x 1
		.amdhsa_system_sgpr_workgroup_id_y 0
		.amdhsa_system_sgpr_workgroup_id_z 0
		.amdhsa_system_sgpr_workgroup_info 0
		.amdhsa_system_vgpr_workitem_id 0
		.amdhsa_next_free_vgpr 294
		.amdhsa_next_free_sgpr 56
		.amdhsa_accum_offset 256
		.amdhsa_reserve_vcc 1
		.amdhsa_float_round_mode_32 0
		.amdhsa_float_round_mode_16_64 0
		.amdhsa_float_denorm_mode_32 3
		.amdhsa_float_denorm_mode_16_64 3
		.amdhsa_dx10_clamp 1
		.amdhsa_ieee_mode 1
		.amdhsa_fp16_overflow 0
		.amdhsa_tg_split 0
		.amdhsa_exception_fp_ieee_invalid_op 0
		.amdhsa_exception_fp_denorm_src 0
		.amdhsa_exception_fp_ieee_div_zero 0
		.amdhsa_exception_fp_ieee_overflow 0
		.amdhsa_exception_fp_ieee_underflow 0
		.amdhsa_exception_fp_ieee_inexact 0
		.amdhsa_exception_int_div_zero 0
	.end_amdhsa_kernel
	.text
.Lfunc_end0:
	.size	bluestein_single_back_len1001_dim1_sp_op_CI_CI, .Lfunc_end0-bluestein_single_back_len1001_dim1_sp_op_CI_CI
                                        ; -- End function
	.section	.AMDGPU.csdata,"",@progbits
; Kernel info:
; codeLenInByte = 17344
; NumSgprs: 62
; NumVgprs: 256
; NumAgprs: 38
; TotalNumVgprs: 294
; ScratchSize: 0
; MemoryBound: 0
; FloatMode: 240
; IeeeMode: 1
; LDSByteSize: 16016 bytes/workgroup (compile time only)
; SGPRBlocks: 7
; VGPRBlocks: 36
; NumSGPRsForWavesPerEU: 62
; NumVGPRsForWavesPerEU: 294
; AccumOffset: 256
; Occupancy: 1
; WaveLimiterHint : 1
; COMPUTE_PGM_RSRC2:SCRATCH_EN: 0
; COMPUTE_PGM_RSRC2:USER_SGPR: 2
; COMPUTE_PGM_RSRC2:TRAP_HANDLER: 0
; COMPUTE_PGM_RSRC2:TGID_X_EN: 1
; COMPUTE_PGM_RSRC2:TGID_Y_EN: 0
; COMPUTE_PGM_RSRC2:TGID_Z_EN: 0
; COMPUTE_PGM_RSRC2:TIDIG_COMP_CNT: 0
; COMPUTE_PGM_RSRC3_GFX90A:ACCUM_OFFSET: 63
; COMPUTE_PGM_RSRC3_GFX90A:TG_SPLIT: 0
	.text
	.p2alignl 6, 3212836864
	.fill 256, 4, 3212836864
	.type	__hip_cuid_c3cde771f272c6e3,@object ; @__hip_cuid_c3cde771f272c6e3
	.section	.bss,"aw",@nobits
	.globl	__hip_cuid_c3cde771f272c6e3
__hip_cuid_c3cde771f272c6e3:
	.byte	0                               ; 0x0
	.size	__hip_cuid_c3cde771f272c6e3, 1

	.ident	"AMD clang version 19.0.0git (https://github.com/RadeonOpenCompute/llvm-project roc-6.4.0 25133 c7fe45cf4b819c5991fe208aaa96edf142730f1d)"
	.section	".note.GNU-stack","",@progbits
	.addrsig
	.addrsig_sym __hip_cuid_c3cde771f272c6e3
	.amdgpu_metadata
---
amdhsa.kernels:
  - .agpr_count:     38
    .args:
      - .actual_access:  read_only
        .address_space:  global
        .offset:         0
        .size:           8
        .value_kind:     global_buffer
      - .actual_access:  read_only
        .address_space:  global
        .offset:         8
        .size:           8
        .value_kind:     global_buffer
      - .actual_access:  read_only
        .address_space:  global
        .offset:         16
        .size:           8
        .value_kind:     global_buffer
      - .actual_access:  read_only
        .address_space:  global
        .offset:         24
        .size:           8
        .value_kind:     global_buffer
      - .actual_access:  read_only
        .address_space:  global
        .offset:         32
        .size:           8
        .value_kind:     global_buffer
      - .offset:         40
        .size:           8
        .value_kind:     by_value
      - .address_space:  global
        .offset:         48
        .size:           8
        .value_kind:     global_buffer
      - .address_space:  global
        .offset:         56
        .size:           8
        .value_kind:     global_buffer
      - .address_space:  global
        .offset:         64
        .size:           8
        .value_kind:     global_buffer
      - .address_space:  global
        .offset:         72
        .size:           8
        .value_kind:     global_buffer
      - .offset:         80
        .size:           4
        .value_kind:     by_value
      - .address_space:  global
        .offset:         88
        .size:           8
        .value_kind:     global_buffer
      - .address_space:  global
        .offset:         96
        .size:           8
        .value_kind:     global_buffer
    .group_segment_fixed_size: 16016
    .kernarg_segment_align: 8
    .kernarg_segment_size: 104
    .language:       OpenCL C
    .language_version:
      - 2
      - 0
    .max_flat_workgroup_size: 182
    .name:           bluestein_single_back_len1001_dim1_sp_op_CI_CI
    .private_segment_fixed_size: 0
    .sgpr_count:     62
    .sgpr_spill_count: 0
    .symbol:         bluestein_single_back_len1001_dim1_sp_op_CI_CI.kd
    .uniform_work_group_size: 1
    .uses_dynamic_stack: false
    .vgpr_count:     294
    .vgpr_spill_count: 0
    .wavefront_size: 64
amdhsa.target:   amdgcn-amd-amdhsa--gfx950
amdhsa.version:
  - 1
  - 2
...

	.end_amdgpu_metadata
